;; amdgpu-corpus repo=ROCm/rocFFT kind=compiled arch=gfx1201 opt=O3
	.text
	.amdgcn_target "amdgcn-amd-amdhsa--gfx1201"
	.amdhsa_code_object_version 6
	.protected	fft_rtc_back_len1176_factors_2_2_2_3_7_7_wgs_56_tpt_56_halfLds_sp_op_CI_CI_unitstride_sbrr_dirReg ; -- Begin function fft_rtc_back_len1176_factors_2_2_2_3_7_7_wgs_56_tpt_56_halfLds_sp_op_CI_CI_unitstride_sbrr_dirReg
	.globl	fft_rtc_back_len1176_factors_2_2_2_3_7_7_wgs_56_tpt_56_halfLds_sp_op_CI_CI_unitstride_sbrr_dirReg
	.p2align	8
	.type	fft_rtc_back_len1176_factors_2_2_2_3_7_7_wgs_56_tpt_56_halfLds_sp_op_CI_CI_unitstride_sbrr_dirReg,@function
fft_rtc_back_len1176_factors_2_2_2_3_7_7_wgs_56_tpt_56_halfLds_sp_op_CI_CI_unitstride_sbrr_dirReg: ; @fft_rtc_back_len1176_factors_2_2_2_3_7_7_wgs_56_tpt_56_halfLds_sp_op_CI_CI_unitstride_sbrr_dirReg
; %bb.0:
	s_clause 0x2
	s_load_b128 s[8:11], s[0:1], 0x0
	s_load_b128 s[4:7], s[0:1], 0x58
	;; [unrolled: 1-line block ×3, first 2 shown]
	v_mul_u32_u24_e32 v1, 0x493, v0
	v_mov_b32_e32 v7, 0
	v_mov_b32_e32 v5, 0
	;; [unrolled: 1-line block ×3, first 2 shown]
	s_delay_alu instid0(VALU_DEP_4) | instskip(NEXT) | instid1(VALU_DEP_1)
	v_lshrrev_b32_e32 v1, 16, v1
	v_dual_mov_b32 v10, v7 :: v_dual_add_nc_u32 v9, ttmp9, v1
	s_wait_kmcnt 0x0
	v_cmp_lt_u64_e64 s2, s[10:11], 2
	s_delay_alu instid0(VALU_DEP_1)
	s_and_b32 vcc_lo, exec_lo, s2
	s_cbranch_vccnz .LBB0_8
; %bb.1:
	s_load_b64 s[2:3], s[0:1], 0x10
	v_mov_b32_e32 v5, 0
	v_mov_b32_e32 v6, 0
	s_delay_alu instid0(VALU_DEP_2)
	v_mov_b32_e32 v1, v5
	s_add_nc_u64 s[16:17], s[14:15], 8
	s_add_nc_u64 s[18:19], s[12:13], 8
	s_mov_b64 s[20:21], 1
	v_mov_b32_e32 v2, v6
	s_wait_kmcnt 0x0
	s_add_nc_u64 s[22:23], s[2:3], 8
	s_mov_b32 s3, 0
.LBB0_2:                                ; =>This Inner Loop Header: Depth=1
	s_load_b64 s[24:25], s[22:23], 0x0
                                        ; implicit-def: $vgpr3_vgpr4
	s_mov_b32 s2, exec_lo
	s_wait_kmcnt 0x0
	v_or_b32_e32 v8, s25, v10
	s_delay_alu instid0(VALU_DEP_1)
	v_cmpx_ne_u64_e32 0, v[7:8]
	s_wait_alu 0xfffe
	s_xor_b32 s26, exec_lo, s2
	s_cbranch_execz .LBB0_4
; %bb.3:                                ;   in Loop: Header=BB0_2 Depth=1
	s_cvt_f32_u32 s2, s24
	s_cvt_f32_u32 s27, s25
	s_sub_nc_u64 s[30:31], 0, s[24:25]
	s_wait_alu 0xfffe
	s_delay_alu instid0(SALU_CYCLE_1) | instskip(SKIP_1) | instid1(SALU_CYCLE_2)
	s_fmamk_f32 s2, s27, 0x4f800000, s2
	s_wait_alu 0xfffe
	v_s_rcp_f32 s2, s2
	s_delay_alu instid0(TRANS32_DEP_1) | instskip(SKIP_1) | instid1(SALU_CYCLE_2)
	s_mul_f32 s2, s2, 0x5f7ffffc
	s_wait_alu 0xfffe
	s_mul_f32 s27, s2, 0x2f800000
	s_wait_alu 0xfffe
	s_delay_alu instid0(SALU_CYCLE_2) | instskip(SKIP_1) | instid1(SALU_CYCLE_2)
	s_trunc_f32 s27, s27
	s_wait_alu 0xfffe
	s_fmamk_f32 s2, s27, 0xcf800000, s2
	s_cvt_u32_f32 s29, s27
	s_wait_alu 0xfffe
	s_delay_alu instid0(SALU_CYCLE_1) | instskip(SKIP_1) | instid1(SALU_CYCLE_2)
	s_cvt_u32_f32 s28, s2
	s_wait_alu 0xfffe
	s_mul_u64 s[34:35], s[30:31], s[28:29]
	s_wait_alu 0xfffe
	s_mul_hi_u32 s37, s28, s35
	s_mul_i32 s36, s28, s35
	s_mul_hi_u32 s2, s28, s34
	s_mul_i32 s33, s29, s34
	s_wait_alu 0xfffe
	s_add_nc_u64 s[36:37], s[2:3], s[36:37]
	s_mul_hi_u32 s27, s29, s34
	s_mul_hi_u32 s38, s29, s35
	s_add_co_u32 s2, s36, s33
	s_wait_alu 0xfffe
	s_add_co_ci_u32 s2, s37, s27
	s_mul_i32 s34, s29, s35
	s_add_co_ci_u32 s35, s38, 0
	s_wait_alu 0xfffe
	s_add_nc_u64 s[34:35], s[2:3], s[34:35]
	s_wait_alu 0xfffe
	v_add_co_u32 v3, s2, s28, s34
	s_delay_alu instid0(VALU_DEP_1) | instskip(SKIP_1) | instid1(VALU_DEP_1)
	s_cmp_lg_u32 s2, 0
	s_add_co_ci_u32 s29, s29, s35
	v_readfirstlane_b32 s28, v3
	s_wait_alu 0xfffe
	s_delay_alu instid0(VALU_DEP_1)
	s_mul_u64 s[30:31], s[30:31], s[28:29]
	s_wait_alu 0xfffe
	s_mul_hi_u32 s35, s28, s31
	s_mul_i32 s34, s28, s31
	s_mul_hi_u32 s2, s28, s30
	s_mul_i32 s33, s29, s30
	s_wait_alu 0xfffe
	s_add_nc_u64 s[34:35], s[2:3], s[34:35]
	s_mul_hi_u32 s27, s29, s30
	s_mul_hi_u32 s28, s29, s31
	s_wait_alu 0xfffe
	s_add_co_u32 s2, s34, s33
	s_add_co_ci_u32 s2, s35, s27
	s_mul_i32 s30, s29, s31
	s_add_co_ci_u32 s31, s28, 0
	s_wait_alu 0xfffe
	s_add_nc_u64 s[30:31], s[2:3], s[30:31]
	s_wait_alu 0xfffe
	v_add_co_u32 v8, s2, v3, s30
	s_delay_alu instid0(VALU_DEP_1) | instskip(SKIP_1) | instid1(VALU_DEP_1)
	s_cmp_lg_u32 s2, 0
	s_add_co_ci_u32 s2, s29, s31
	v_mul_hi_u32 v15, v9, v8
	s_wait_alu 0xfffe
	v_mad_co_u64_u32 v[3:4], null, v9, s2, 0
	v_mad_co_u64_u32 v[11:12], null, v10, v8, 0
	;; [unrolled: 1-line block ×3, first 2 shown]
	s_delay_alu instid0(VALU_DEP_3) | instskip(SKIP_1) | instid1(VALU_DEP_4)
	v_add_co_u32 v3, vcc_lo, v15, v3
	s_wait_alu 0xfffd
	v_add_co_ci_u32_e32 v4, vcc_lo, 0, v4, vcc_lo
	s_delay_alu instid0(VALU_DEP_2) | instskip(SKIP_1) | instid1(VALU_DEP_2)
	v_add_co_u32 v3, vcc_lo, v3, v11
	s_wait_alu 0xfffd
	v_add_co_ci_u32_e32 v3, vcc_lo, v4, v12, vcc_lo
	s_wait_alu 0xfffd
	v_add_co_ci_u32_e32 v4, vcc_lo, 0, v14, vcc_lo
	s_delay_alu instid0(VALU_DEP_2) | instskip(SKIP_1) | instid1(VALU_DEP_2)
	v_add_co_u32 v8, vcc_lo, v3, v13
	s_wait_alu 0xfffd
	v_add_co_ci_u32_e32 v11, vcc_lo, 0, v4, vcc_lo
	s_delay_alu instid0(VALU_DEP_2) | instskip(SKIP_1) | instid1(VALU_DEP_3)
	v_mul_lo_u32 v12, s25, v8
	v_mad_co_u64_u32 v[3:4], null, s24, v8, 0
	v_mul_lo_u32 v13, s24, v11
	s_delay_alu instid0(VALU_DEP_2) | instskip(NEXT) | instid1(VALU_DEP_2)
	v_sub_co_u32 v3, vcc_lo, v9, v3
	v_add3_u32 v4, v4, v13, v12
	s_delay_alu instid0(VALU_DEP_1) | instskip(SKIP_1) | instid1(VALU_DEP_1)
	v_sub_nc_u32_e32 v12, v10, v4
	s_wait_alu 0xfffd
	v_subrev_co_ci_u32_e64 v12, s2, s25, v12, vcc_lo
	v_add_co_u32 v13, s2, v8, 2
	s_wait_alu 0xf1ff
	v_add_co_ci_u32_e64 v14, s2, 0, v11, s2
	v_sub_co_u32 v15, s2, v3, s24
	v_sub_co_ci_u32_e32 v4, vcc_lo, v10, v4, vcc_lo
	s_wait_alu 0xf1ff
	v_subrev_co_ci_u32_e64 v12, s2, 0, v12, s2
	s_delay_alu instid0(VALU_DEP_3) | instskip(NEXT) | instid1(VALU_DEP_3)
	v_cmp_le_u32_e32 vcc_lo, s24, v15
	v_cmp_eq_u32_e64 s2, s25, v4
	s_wait_alu 0xfffd
	v_cndmask_b32_e64 v15, 0, -1, vcc_lo
	v_cmp_le_u32_e32 vcc_lo, s25, v12
	s_wait_alu 0xfffd
	v_cndmask_b32_e64 v16, 0, -1, vcc_lo
	v_cmp_le_u32_e32 vcc_lo, s24, v3
	;; [unrolled: 3-line block ×3, first 2 shown]
	s_wait_alu 0xfffd
	v_cndmask_b32_e64 v17, 0, -1, vcc_lo
	v_cmp_eq_u32_e32 vcc_lo, s25, v12
	s_wait_alu 0xf1ff
	s_delay_alu instid0(VALU_DEP_2)
	v_cndmask_b32_e64 v3, v17, v3, s2
	s_wait_alu 0xfffd
	v_cndmask_b32_e32 v12, v16, v15, vcc_lo
	v_add_co_u32 v15, vcc_lo, v8, 1
	s_wait_alu 0xfffd
	v_add_co_ci_u32_e32 v16, vcc_lo, 0, v11, vcc_lo
	s_delay_alu instid0(VALU_DEP_3) | instskip(SKIP_1) | instid1(VALU_DEP_2)
	v_cmp_ne_u32_e32 vcc_lo, 0, v12
	s_wait_alu 0xfffd
	v_cndmask_b32_e32 v4, v16, v14, vcc_lo
	v_cndmask_b32_e32 v12, v15, v13, vcc_lo
	v_cmp_ne_u32_e32 vcc_lo, 0, v3
	s_wait_alu 0xfffd
	s_delay_alu instid0(VALU_DEP_3) | instskip(NEXT) | instid1(VALU_DEP_3)
	v_cndmask_b32_e32 v4, v11, v4, vcc_lo
	v_cndmask_b32_e32 v3, v8, v12, vcc_lo
.LBB0_4:                                ;   in Loop: Header=BB0_2 Depth=1
	s_wait_alu 0xfffe
	s_and_not1_saveexec_b32 s2, s26
	s_cbranch_execz .LBB0_6
; %bb.5:                                ;   in Loop: Header=BB0_2 Depth=1
	v_cvt_f32_u32_e32 v3, s24
	s_sub_co_i32 s26, 0, s24
	s_delay_alu instid0(VALU_DEP_1) | instskip(NEXT) | instid1(TRANS32_DEP_1)
	v_rcp_iflag_f32_e32 v3, v3
	v_mul_f32_e32 v3, 0x4f7ffffe, v3
	s_delay_alu instid0(VALU_DEP_1) | instskip(SKIP_1) | instid1(VALU_DEP_1)
	v_cvt_u32_f32_e32 v3, v3
	s_wait_alu 0xfffe
	v_mul_lo_u32 v4, s26, v3
	s_delay_alu instid0(VALU_DEP_1) | instskip(NEXT) | instid1(VALU_DEP_1)
	v_mul_hi_u32 v4, v3, v4
	v_add_nc_u32_e32 v3, v3, v4
	s_delay_alu instid0(VALU_DEP_1) | instskip(NEXT) | instid1(VALU_DEP_1)
	v_mul_hi_u32 v3, v9, v3
	v_mul_lo_u32 v4, v3, s24
	v_add_nc_u32_e32 v8, 1, v3
	s_delay_alu instid0(VALU_DEP_2) | instskip(NEXT) | instid1(VALU_DEP_1)
	v_sub_nc_u32_e32 v4, v9, v4
	v_subrev_nc_u32_e32 v11, s24, v4
	v_cmp_le_u32_e32 vcc_lo, s24, v4
	s_wait_alu 0xfffd
	s_delay_alu instid0(VALU_DEP_2) | instskip(NEXT) | instid1(VALU_DEP_1)
	v_dual_cndmask_b32 v4, v4, v11 :: v_dual_cndmask_b32 v3, v3, v8
	v_cmp_le_u32_e32 vcc_lo, s24, v4
	s_delay_alu instid0(VALU_DEP_2) | instskip(SKIP_2) | instid1(VALU_DEP_2)
	v_add_nc_u32_e32 v8, 1, v3
	v_mov_b32_e32 v4, v7
	s_wait_alu 0xfffd
	v_cndmask_b32_e32 v3, v3, v8, vcc_lo
.LBB0_6:                                ;   in Loop: Header=BB0_2 Depth=1
	s_wait_alu 0xfffe
	s_or_b32 exec_lo, exec_lo, s2
	v_mul_lo_u32 v8, v4, s24
	s_delay_alu instid0(VALU_DEP_2)
	v_mul_lo_u32 v13, v3, s25
	s_load_b64 s[26:27], s[18:19], 0x0
	v_mad_co_u64_u32 v[11:12], null, v3, s24, 0
	s_load_b64 s[24:25], s[16:17], 0x0
	s_add_nc_u64 s[20:21], s[20:21], 1
	s_add_nc_u64 s[16:17], s[16:17], 8
	s_wait_alu 0xfffe
	v_cmp_ge_u64_e64 s2, s[20:21], s[10:11]
	s_add_nc_u64 s[18:19], s[18:19], 8
	s_add_nc_u64 s[22:23], s[22:23], 8
	v_add3_u32 v8, v12, v13, v8
	v_sub_co_u32 v9, vcc_lo, v9, v11
	s_wait_alu 0xfffd
	s_delay_alu instid0(VALU_DEP_2) | instskip(SKIP_2) | instid1(VALU_DEP_1)
	v_sub_co_ci_u32_e32 v8, vcc_lo, v10, v8, vcc_lo
	s_and_b32 vcc_lo, exec_lo, s2
	s_wait_kmcnt 0x0
	v_mul_lo_u32 v10, s26, v8
	v_mul_lo_u32 v11, s27, v9
	v_mad_co_u64_u32 v[5:6], null, s26, v9, v[5:6]
	v_mul_lo_u32 v8, s24, v8
	v_mul_lo_u32 v12, s25, v9
	v_mad_co_u64_u32 v[1:2], null, s24, v9, v[1:2]
	s_delay_alu instid0(VALU_DEP_4) | instskip(NEXT) | instid1(VALU_DEP_2)
	v_add3_u32 v6, v11, v6, v10
	v_add3_u32 v2, v12, v2, v8
	s_wait_alu 0xfffe
	s_cbranch_vccnz .LBB0_9
; %bb.7:                                ;   in Loop: Header=BB0_2 Depth=1
	v_dual_mov_b32 v10, v4 :: v_dual_mov_b32 v9, v3
	s_branch .LBB0_2
.LBB0_8:
	v_dual_mov_b32 v1, v5 :: v_dual_mov_b32 v2, v6
	v_dual_mov_b32 v3, v9 :: v_dual_mov_b32 v4, v10
.LBB0_9:
	s_load_b64 s[0:1], s[0:1], 0x28
	v_mul_hi_u32 v9, 0x4924925, v0
	s_lshl_b64 s[10:11], s[10:11], 3
                                        ; implicit-def: $vgpr68
                                        ; implicit-def: $vgpr74
	s_wait_alu 0xfffe
	s_add_nc_u64 s[2:3], s[14:15], s[10:11]
                                        ; implicit-def: $sgpr14
	s_wait_kmcnt 0x0
	v_cmp_gt_u64_e32 vcc_lo, s[0:1], v[3:4]
	v_cmp_le_u64_e64 s0, s[0:1], v[3:4]
	s_delay_alu instid0(VALU_DEP_1)
	s_and_saveexec_b32 s1, s0
	s_wait_alu 0xfffe
	s_xor_b32 s0, exec_lo, s1
; %bb.10:
	v_mul_u32_u24_e32 v5, 56, v9
	s_mov_b32 s14, 0
                                        ; implicit-def: $vgpr9
	s_delay_alu instid0(VALU_DEP_1) | instskip(NEXT) | instid1(VALU_DEP_1)
	v_sub_nc_u32_e32 v68, v0, v5
                                        ; implicit-def: $vgpr0
                                        ; implicit-def: $vgpr5_vgpr6
	v_or_b32_e32 v74, 0x1c0, v68
; %bb.11:
	s_wait_alu 0xfffe
	s_or_saveexec_b32 s1, s0
	s_load_b64 s[2:3], s[2:3], 0x0
	v_dual_mov_b32 v8, s14 :: v_dual_mov_b32 v7, s14
                                        ; implicit-def: $vgpr23
                                        ; implicit-def: $vgpr53
                                        ; implicit-def: $vgpr19
                                        ; implicit-def: $vgpr21
                                        ; implicit-def: $vgpr25
                                        ; implicit-def: $vgpr37
                                        ; implicit-def: $vgpr31
                                        ; implicit-def: $vgpr41
                                        ; implicit-def: $vgpr35
                                        ; implicit-def: $vgpr43
                                        ; implicit-def: $vgpr27
                                        ; implicit-def: $vgpr29
                                        ; implicit-def: $vgpr45
                                        ; implicit-def: $vgpr33
                                        ; implicit-def: $vgpr39
                                        ; implicit-def: $vgpr59
                                        ; implicit-def: $vgpr49
                                        ; implicit-def: $vgpr51
                                        ; implicit-def: $vgpr57
                                        ; implicit-def: $vgpr55
                                        ; implicit-def: $vgpr47
	s_xor_b32 exec_lo, exec_lo, s1
	s_cbranch_execz .LBB0_15
; %bb.12:
	s_add_nc_u64 s[10:11], s[12:13], s[10:11]
	v_mul_u32_u24_e32 v9, 56, v9
	s_load_b64 s[10:11], s[10:11], 0x0
	v_lshlrev_b64_e32 v[5:6], 3, v[5:6]
                                        ; implicit-def: $vgpr58
	s_delay_alu instid0(VALU_DEP_2) | instskip(SKIP_4) | instid1(VALU_DEP_1)
	v_sub_nc_u32_e32 v68, v0, v9
	s_wait_kmcnt 0x0
	v_mul_lo_u32 v10, s11, v3
	v_mul_lo_u32 v11, s10, v4
	v_mad_co_u64_u32 v[7:8], null, s10, v3, 0
	v_add3_u32 v8, v8, v11, v10
	s_delay_alu instid0(VALU_DEP_1) | instskip(NEXT) | instid1(VALU_DEP_1)
	v_lshlrev_b64_e32 v[7:8], 3, v[7:8]
	v_add_co_u32 v0, s0, s4, v7
	s_wait_alu 0xf1ff
	s_delay_alu instid0(VALU_DEP_2) | instskip(SKIP_1) | instid1(VALU_DEP_3)
	v_add_co_ci_u32_e64 v7, s0, s5, v8, s0
	v_lshlrev_b32_e32 v8, 3, v68
	v_add_co_u32 v0, s0, v0, v5
	s_wait_alu 0xf1ff
	s_delay_alu instid0(VALU_DEP_3) | instskip(SKIP_1) | instid1(VALU_DEP_3)
	v_add_co_ci_u32_e64 v6, s0, v7, v6, s0
	v_mov_b32_e32 v7, 0
	v_add_co_u32 v5, s0, v0, v8
	s_wait_alu 0xf1ff
	s_delay_alu instid0(VALU_DEP_3)
	v_add_co_ci_u32_e64 v6, s0, 0, v6, s0
	v_mov_b32_e32 v8, 0
	s_clause 0x13
	global_load_b64 v[46:47], v[5:6], off offset:5152
	global_load_b64 v[22:23], v[5:6], off
	global_load_b64 v[18:19], v[5:6], off offset:448
	global_load_b64 v[20:21], v[5:6], off offset:896
	;; [unrolled: 1-line block ×18, first 2 shown]
	s_mov_b32 s4, exec_lo
	v_cmpx_gt_u32_e32 28, v68
; %bb.13:
	s_clause 0x1
	global_load_b64 v[7:8], v[5:6], off offset:4480
	global_load_b64 v[58:59], v[5:6], off offset:9184
; %bb.14:
	s_wait_alu 0xfffe
	s_or_b32 exec_lo, exec_lo, s4
	v_or_b32_e32 v74, 0x1c0, v68
.LBB0_15:
	s_or_b32 exec_lo, exec_lo, s1
	s_wait_loadcnt 0x1
	v_dual_sub_f32 v10, v22, v52 :: v_dual_sub_f32 v67, v32, v50
	v_dual_sub_f32 v12, v18, v46 :: v_dual_sub_f32 v65, v28, v44
	v_sub_f32_e32 v16, v24, v36
	s_wait_loadcnt 0x0
	v_dual_sub_f32 v63, v26, v56 :: v_dual_sub_f32 v6, v7, v58
	v_dual_sub_f32 v14, v20, v54 :: v_dual_sub_f32 v61, v30, v40
	v_fma_f32 v9, v22, 2.0, -v10
	v_fma_f32 v11, v18, 2.0, -v12
	;; [unrolled: 1-line block ×3, first 2 shown]
	v_dual_sub_f32 v18, v34, v42 :: v_dual_add_nc_u32 v69, 56, v68
	v_sub_f32_e32 v76, v38, v48
	v_fma_f32 v62, v26, 2.0, -v63
	v_add_nc_u32_e32 v58, 0x70, v68
	v_add_nc_u32_e32 v70, 0xa8, v68
	;; [unrolled: 1-line block ×8, first 2 shown]
	v_fma_f32 v60, v30, 2.0, -v61
	v_fma_f32 v17, v34, 2.0, -v18
	;; [unrolled: 1-line block ×6, first 2 shown]
	v_lshl_add_u32 v36, v68, 3, 0
	v_lshl_add_u32 v34, v69, 3, 0
	;; [unrolled: 1-line block ×10, first 2 shown]
	v_cmp_gt_u32_e64 s0, 28, v68
	v_lshl_add_u32 v40, v22, 3, 0
	v_fma_f32 v13, v20, 2.0, -v14
	ds_store_b64 v36, v[9:10]
	ds_store_b64 v34, v[11:12]
	;; [unrolled: 1-line block ×10, first 2 shown]
	s_and_saveexec_b32 s1, s0
	s_cbranch_execz .LBB0_17
; %bb.16:
	ds_store_b64 v40, v[5:6]
.LBB0_17:
	s_wait_alu 0xfffe
	s_or_b32 exec_lo, exec_lo, s1
	v_lshl_add_u32 v0, v68, 2, 0
	v_lshlrev_b32_e32 v20, 2, v74
	global_wb scope:SCOPE_SE
	s_wait_dscnt 0x0
	s_wait_kmcnt 0x0
	s_barrier_signal -1
	s_barrier_wait -1
	v_add_nc_u32_e32 v7, 0x600, v0
	v_add_nc_u32_e32 v9, 0x800, v0
	;; [unrolled: 1-line block ×3, first 2 shown]
	global_inv scope:SCOPE_SE
	ds_load_2addr_b32 v[60:61], v0 offset1:56
	ds_load_2addr_b32 v[15:16], v7 offset0:120 offset1:204
	ds_load_2addr_b32 v[11:12], v9 offset0:132 offset1:188
	ds_load_2addr_b32 v[62:63], v0 offset0:112 offset1:168
	ds_load_2addr_b32 v[9:10], v10 offset0:116 offset1:172
	v_add_nc_u32_e32 v7, 0x200, v0
	v_add_nc_u32_e32 v13, 0xc00, v0
	v_add_nc_u32_e32 v14, 0x400, v0
	v_add_nc_u32_e32 v50, 0xe00, v0
	v_sub_nc_u32_e32 v52, v30, v20
	ds_load_2addr_b32 v[64:65], v7 offset0:96 offset1:152
	ds_load_2addr_b32 v[17:18], v13 offset0:100 offset1:156
	;; [unrolled: 1-line block ×4, first 2 shown]
	ds_load_b32 v7, v52
	ds_load_b32 v84, v0 offset:4368
	s_and_saveexec_b32 s1, s0
	s_cbranch_execz .LBB0_19
; %bb.18:
	ds_load_b32 v5, v0 offset:2240
	ds_load_b32 v6, v0 offset:4592
.LBB0_19:
	s_wait_alu 0xfffe
	s_or_b32 exec_lo, exec_lo, s1
	v_sub_f32_e32 v54, v23, v53
	v_sub_nc_u32_e32 v52, 0, v20
	v_sub_f32_e32 v56, v19, v47
	v_sub_f32_e32 v20, v8, v59
	v_sub_f32_e32 v76, v21, v55
	v_sub_f32_e32 v78, v25, v37
	v_sub_f32_e32 v80, v31, v41
	v_fma_f32 v53, v23, 2.0, -v54
	v_sub_f32_e32 v82, v35, v43
	v_fma_f32 v55, v19, 2.0, -v56
	v_sub_f32_e32 v50, v27, v57
	v_sub_f32_e32 v86, v29, v45
	v_sub_f32_e32 v88, v33, v51
	v_sub_f32_e32 v90, v39, v49
	v_fma_f32 v19, v8, 2.0, -v20
	v_fma_f32 v75, v21, 2.0, -v76
	v_fma_f32 v77, v25, 2.0, -v78
	v_fma_f32 v79, v31, 2.0, -v80
	v_fma_f32 v81, v35, 2.0, -v82
	v_fma_f32 v49, v27, 2.0, -v50
	v_fma_f32 v85, v29, 2.0, -v86
	v_fma_f32 v87, v33, 2.0, -v88
	v_fma_f32 v89, v39, 2.0, -v90
	global_wb scope:SCOPE_SE
	s_wait_dscnt 0x0
	s_barrier_signal -1
	s_barrier_wait -1
	global_inv scope:SCOPE_SE
	ds_store_b64 v36, v[53:54]
	ds_store_b64 v34, v[55:56]
	;; [unrolled: 1-line block ×10, first 2 shown]
	s_and_saveexec_b32 s1, s0
	s_cbranch_execz .LBB0_21
; %bb.20:
	ds_store_b64 v40, v[19:20]
.LBB0_21:
	s_wait_alu 0xfffe
	s_or_b32 exec_lo, exec_lo, s1
	v_add_nc_u32_e32 v8, 0x600, v0
	v_add_nc_u32_e32 v21, 0x800, v0
	;; [unrolled: 1-line block ×3, first 2 shown]
	global_wb scope:SCOPE_SE
	s_wait_dscnt 0x0
	s_barrier_signal -1
	s_barrier_wait -1
	global_inv scope:SCOPE_SE
	ds_load_2addr_b32 v[31:32], v0 offset1:56
	ds_load_2addr_b32 v[27:28], v8 offset0:120 offset1:204
	ds_load_2addr_b32 v[47:48], v21 offset0:132 offset1:188
	;; [unrolled: 1-line block ×4, first 2 shown]
	v_add_nc_u32_e32 v8, 0x200, v0
	v_add_nc_u32_e32 v21, 0xc00, v0
	;; [unrolled: 1-line block ×5, first 2 shown]
	ds_load_2addr_b32 v[37:38], v8 offset0:96 offset1:152
	ds_load_2addr_b32 v[53:54], v21 offset0:100 offset1:156
	ds_load_2addr_b32 v[35:36], v23 offset0:80 offset1:136
	ds_load_2addr_b32 v[51:52], v25 offset0:84 offset1:140
	ds_load_b32 v86, v85
	ds_load_b32 v88, v0 offset:4368
	v_lshlrev_b32_e32 v83, 1, v68
	v_lshlrev_b32_e32 v82, 1, v69
	;; [unrolled: 1-line block ×10, first 2 shown]
	s_and_saveexec_b32 s1, s0
	s_cbranch_execz .LBB0_23
; %bb.22:
	ds_load_b32 v19, v0 offset:2240
	ds_load_b32 v20, v0 offset:4592
.LBB0_23:
	s_wait_alu 0xfffe
	s_or_b32 exec_lo, exec_lo, s1
	v_and_b32_e32 v87, 1, v68
	s_delay_alu instid0(VALU_DEP_1)
	v_lshlrev_b32_e32 v8, 3, v87
	global_load_b64 v[55:56], v8, s[8:9]
	v_and_or_b32 v8, 0x7c, v83, v87
	v_lshlrev_b32_e32 v57, 1, v22
	global_wb scope:SCOPE_SE
	s_wait_loadcnt_dscnt 0x0
	s_barrier_signal -1
	s_barrier_wait -1
	v_lshl_add_u32 v89, v8, 2, 0
	global_inv scope:SCOPE_SE
	v_mul_f32_e32 v8, v28, v56
	s_delay_alu instid0(VALU_DEP_1)
	v_fmac_f32_e32 v8, v16, v55
	v_and_or_b32 v21, 0xfc, v82, v87
	v_and_or_b32 v22, 0x1fc, v81, v87
	;; [unrolled: 1-line block ×5, first 2 shown]
	v_lshl_add_u32 v90, v21, 2, 0
	v_lshl_add_u32 v91, v22, 2, 0
	v_mul_f32_e32 v21, v47, v56
	v_mul_f32_e32 v22, v48, v56
	v_and_or_b32 v26, 0x3fc, v77, v87
	v_lshl_add_u32 v92, v23, 2, 0
	v_lshl_add_u32 v93, v24, 2, 0
	v_fmac_f32_e32 v21, v11, v55
	v_dual_mul_f32 v23, v49, v56 :: v_dual_fmac_f32 v22, v12, v55
	v_mul_f32_e32 v24, v50, v56
	v_and_or_b32 v29, 0x3fc, v76, v87
	v_and_or_b32 v30, 0x3fc, v75, v87
	s_delay_alu instid0(VALU_DEP_4)
	v_fmac_f32_e32 v23, v9, v55
	v_lshl_add_u32 v94, v25, 2, 0
	v_lshl_add_u32 v95, v26, 2, 0
	v_dual_mul_f32 v25, v53, v56 :: v_dual_fmac_f32 v24, v10, v55
	v_mul_f32_e32 v26, v54, v56
	v_and_or_b32 v39, 0x7fc, v74, v87
	v_lshl_add_u32 v96, v29, 2, 0
	s_delay_alu instid0(VALU_DEP_4)
	v_fmac_f32_e32 v25, v17, v55
	v_lshl_add_u32 v97, v30, 2, 0
	v_dual_mul_f32 v29, v51, v56 :: v_dual_fmac_f32 v26, v18, v55
	v_mul_f32_e32 v30, v52, v56
	v_dual_mul_f32 v40, v20, v56 :: v_dual_sub_f32 v21, v61, v21
	v_lshl_add_u32 v98, v39, 2, 0
	s_delay_alu instid0(VALU_DEP_4) | instskip(NEXT) | instid1(VALU_DEP_4)
	v_fmac_f32_e32 v29, v13, v55
	v_dual_mul_f32 v39, v88, v56 :: v_dual_fmac_f32 v30, v14, v55
	s_delay_alu instid0(VALU_DEP_4) | instskip(SKIP_1) | instid1(VALU_DEP_3)
	v_dual_fmac_f32 v40, v6, v55 :: v_dual_sub_f32 v25, v65, v25
	v_dual_sub_f32 v8, v60, v8 :: v_dual_sub_f32 v23, v63, v23
	v_dual_fmac_f32 v39, v84, v55 :: v_dual_sub_f32 v22, v62, v22
	s_delay_alu instid0(VALU_DEP_3) | instskip(SKIP_1) | instid1(VALU_DEP_3)
	v_dual_sub_f32 v30, v7, v30 :: v_dual_sub_f32 v59, v5, v40
	v_dual_sub_f32 v24, v64, v24 :: v_dual_sub_f32 v29, v67, v29
	;; [unrolled: 1-line block ×3, first 2 shown]
	v_fma_f32 v40, v60, 2.0, -v8
	s_delay_alu instid0(VALU_DEP_4)
	v_fma_f32 v60, v5, 2.0, -v59
	v_fma_f32 v41, v61, 2.0, -v21
	;; [unrolled: 1-line block ×10, first 2 shown]
	ds_store_2addr_b32 v89, v40, v8 offset1:2
	ds_store_2addr_b32 v90, v41, v21 offset1:2
	;; [unrolled: 1-line block ×10, first 2 shown]
	s_and_saveexec_b32 s1, s0
	s_cbranch_execz .LBB0_25
; %bb.24:
	v_and_or_b32 v5, 0x4fc, v57, v87
	s_delay_alu instid0(VALU_DEP_1)
	v_lshl_add_u32 v5, v5, 2, 0
	ds_store_2addr_b32 v5, v60, v59 offset1:2
.LBB0_25:
	s_wait_alu 0xfffe
	s_or_b32 exec_lo, exec_lo, s1
	v_add_nc_u32_e32 v5, 0x600, v0
	v_add_nc_u32_e32 v7, 0x800, v0
	global_wb scope:SCOPE_SE
	s_wait_dscnt 0x0
	s_barrier_signal -1
	s_barrier_wait -1
	global_inv scope:SCOPE_SE
	ds_load_2addr_b32 v[39:40], v0 offset1:56
	ds_load_2addr_b32 v[25:26], v5 offset0:120 offset1:204
	ds_load_2addr_b32 v[21:22], v7 offset0:132 offset1:188
	;; [unrolled: 1-line block ×3, first 2 shown]
	v_add_nc_u32_e32 v5, 0xa00, v0
	v_add_nc_u32_e32 v7, 0x200, v0
	;; [unrolled: 1-line block ×5, first 2 shown]
	ds_load_2addr_b32 v[29:30], v5 offset0:116 offset1:172
	ds_load_2addr_b32 v[43:44], v7 offset0:96 offset1:152
	;; [unrolled: 1-line block ×5, first 2 shown]
	ds_load_b32 v62, v85
	ds_load_b32 v61, v0 offset:4368
	s_and_saveexec_b32 s1, s0
	s_cbranch_execz .LBB0_27
; %bb.26:
	ds_load_b32 v60, v0 offset:2240
	ds_load_b32 v59, v0 offset:4592
.LBB0_27:
	s_wait_alu 0xfffe
	s_or_b32 exec_lo, exec_lo, s1
	v_mul_f32_e32 v15, v17, v56
	v_mul_f32_e32 v17, v84, v56
	v_mul_f32_e32 v13, v13, v56
	v_mul_f32_e32 v6, v6, v56
	v_mul_f32_e32 v9, v9, v56
	v_fma_f32 v15, v53, v55, -v15
	v_fma_f32 v17, v88, v55, -v17
	v_mul_f32_e32 v14, v14, v56
	v_fma_f32 v13, v51, v55, -v13
	v_fma_f32 v6, v20, v55, -v6
	;; [unrolled: 1-line block ×3, first 2 shown]
	v_sub_f32_e32 v17, v27, v17
	v_fma_f32 v14, v52, v55, -v14
	v_mul_f32_e32 v11, v11, v56
	global_wb scope:SCOPE_SE
	s_wait_dscnt 0x0
	s_barrier_signal -1
	v_fma_f32 v27, v27, 2.0, -v17
	v_sub_f32_e32 v14, v86, v14
	v_fma_f32 v11, v47, v55, -v11
	v_dual_mul_f32 v10, v10, v56 :: v_dual_sub_f32 v13, v36, v13
	v_sub_f32_e32 v47, v19, v6
	s_barrier_wait -1
	s_delay_alu instid0(VALU_DEP_3) | instskip(NEXT) | instid1(VALU_DEP_3)
	v_sub_f32_e32 v11, v32, v11
	v_fma_f32 v10, v50, v55, -v10
	v_mul_f32_e32 v5, v16, v56
	v_mul_f32_e32 v16, v18, v56
	global_inv scope:SCOPE_SE
	v_fma_f32 v20, v32, 2.0, -v11
	v_sub_f32_e32 v10, v37, v10
	v_fma_f32 v5, v28, v55, -v5
	v_mul_f32_e32 v12, v12, v56
	v_fma_f32 v16, v54, v55, -v16
	v_sub_f32_e32 v15, v38, v15
	v_fma_f32 v32, v37, 2.0, -v10
	v_sub_f32_e32 v5, v31, v5
	v_fma_f32 v12, v48, v55, -v12
	v_dual_sub_f32 v16, v35, v16 :: v_dual_sub_f32 v9, v34, v9
	s_delay_alu instid0(VALU_DEP_3) | instskip(NEXT) | instid1(VALU_DEP_3)
	v_fma_f32 v18, v31, 2.0, -v5
	v_sub_f32_e32 v12, v33, v12
	s_delay_alu instid0(VALU_DEP_3) | instskip(NEXT) | instid1(VALU_DEP_4)
	v_fma_f32 v6, v35, 2.0, -v16
	v_fma_f32 v31, v34, 2.0, -v9
	;; [unrolled: 1-line block ×7, first 2 shown]
	ds_store_2addr_b32 v89, v18, v5 offset1:2
	ds_store_2addr_b32 v90, v20, v11 offset1:2
	;; [unrolled: 1-line block ×10, first 2 shown]
	s_and_saveexec_b32 s1, s0
	s_cbranch_execz .LBB0_29
; %bb.28:
	v_and_or_b32 v5, 0x4fc, v57, v87
	s_delay_alu instid0(VALU_DEP_1)
	v_lshl_add_u32 v5, v5, 2, 0
	ds_store_2addr_b32 v5, v38, v47 offset1:2
.LBB0_29:
	s_wait_alu 0xfffe
	s_or_b32 exec_lo, exec_lo, s1
	v_add_nc_u32_e32 v15, 0xa00, v0
	v_add_nc_u32_e32 v9, 0x600, v0
	v_add_nc_u32_e32 v16, 0x200, v0
	v_add_nc_u32_e32 v10, 0x800, v0
	v_add_nc_u32_e32 v19, 0xc00, v0
	v_add_nc_u32_e32 v20, 0x400, v0
	v_add_nc_u32_e32 v31, 0xe00, v0
	global_wb scope:SCOPE_SE
	s_wait_dscnt 0x0
	s_barrier_signal -1
	s_barrier_wait -1
	global_inv scope:SCOPE_SE
	ds_load_2addr_b32 v[5:6], v0 offset1:56
	ds_load_2addr_b32 v[13:14], v9 offset0:120 offset1:204
	ds_load_2addr_b32 v[11:12], v10 offset0:132 offset1:188
	;; [unrolled: 1-line block ×8, first 2 shown]
	ds_load_b32 v49, v85
	ds_load_b32 v35, v0 offset:4368
	s_and_saveexec_b32 s1, s0
	s_cbranch_execz .LBB0_31
; %bb.30:
	ds_load_b32 v38, v0 offset:2240
	ds_load_b32 v47, v0 offset:4592
.LBB0_31:
	s_wait_alu 0xfffe
	s_or_b32 exec_lo, exec_lo, s1
	v_and_b32_e32 v48, 3, v68
	s_delay_alu instid0(VALU_DEP_1)
	v_lshlrev_b32_e32 v15, 3, v48
	v_and_or_b32 v37, 0xf8, v82, v48
	global_load_b64 v[15:16], v15, s[8:9] offset:16
	v_lshl_add_u32 v51, v37, 2, 0
	global_wb scope:SCOPE_SE
	s_wait_loadcnt_dscnt 0x0
	s_barrier_signal -1
	s_barrier_wait -1
	global_inv scope:SCOPE_SE
	v_mul_f32_e32 v37, v11, v16
	s_delay_alu instid0(VALU_DEP_1)
	v_fmac_f32_e32 v37, v21, v15
	v_and_or_b32 v54, 0x3f8, v79, v48
	v_and_or_b32 v63, 0x3f8, v76, v48
	v_mul_f32_e32 v79, v35, v16
	v_mul_f32_e32 v76, v28, v16
	v_and_or_b32 v56, 0x3f8, v77, v48
	v_and_or_b32 v65, 0x7f8, v74, v48
	;; [unrolled: 1-line block ×3, first 2 shown]
	v_fmac_f32_e32 v79, v61, v15
	v_dual_mul_f32 v77, v31, v16 :: v_dual_fmac_f32 v76, v24, v15
	v_mul_f32_e32 v74, v34, v16
	v_and_or_b32 v64, 0x3f8, v75, v48
	v_lshl_add_u32 v50, v36, 2, 0
	s_delay_alu instid0(VALU_DEP_4) | instskip(NEXT) | instid1(VALU_DEP_4)
	v_fmac_f32_e32 v77, v7, v15
	v_dual_mul_f32 v75, v27, v16 :: v_dual_fmac_f32 v74, v30, v15
	v_mul_f32_e32 v66, v12, v16
	v_and_or_b32 v55, 0x2f8, v78, v48
	v_and_or_b32 v52, 0x1f8, v81, v48
	s_delay_alu instid0(VALU_DEP_4) | instskip(NEXT) | instid1(VALU_DEP_4)
	v_fmac_f32_e32 v75, v23, v15
	v_dual_mul_f32 v67, v33, v16 :: v_dual_fmac_f32 v66, v22, v15
	v_mul_f32_e32 v36, v14, v16
	v_and_or_b32 v53, 0x1f8, v80, v48
	v_sub_f32_e32 v37, v40, v37
	s_delay_alu instid0(VALU_DEP_4) | instskip(NEXT) | instid1(VALU_DEP_4)
	v_dual_fmac_f32 v67, v29, v15 :: v_dual_mul_f32 v78, v32, v16
	v_fmac_f32_e32 v36, v26, v15
	v_sub_f32_e32 v66, v41, v66
	v_dual_sub_f32 v74, v43, v74 :: v_dual_sub_f32 v75, v44, v75
	s_delay_alu instid0(VALU_DEP_4)
	v_sub_f32_e32 v67, v42, v67
	v_fmac_f32_e32 v78, v8, v15
	v_sub_f32_e32 v36, v39, v36
	v_lshl_add_u32 v52, v52, 2, 0
	v_lshl_add_u32 v53, v53, 2, 0
	;; [unrolled: 1-line block ×8, first 2 shown]
	v_dual_sub_f32 v76, v45, v76 :: v_dual_sub_f32 v77, v46, v77
	v_dual_sub_f32 v78, v62, v78 :: v_dual_sub_f32 v79, v25, v79
	v_fma_f32 v39, v39, 2.0, -v36
	v_fma_f32 v40, v40, 2.0, -v37
	v_fma_f32 v41, v41, 2.0, -v66
	v_fma_f32 v42, v42, 2.0, -v67
	v_fma_f32 v43, v43, 2.0, -v74
	v_fma_f32 v44, v44, 2.0, -v75
	v_fma_f32 v45, v45, 2.0, -v76
	v_fma_f32 v46, v46, 2.0, -v77
	v_fma_f32 v62, v62, 2.0, -v78
	v_fma_f32 v25, v25, 2.0, -v79
	ds_store_2addr_b32 v50, v39, v36 offset1:4
	ds_store_2addr_b32 v51, v40, v37 offset1:4
	;; [unrolled: 1-line block ×10, first 2 shown]
	s_and_saveexec_b32 s1, s0
	s_cbranch_execz .LBB0_33
; %bb.32:
	v_mul_f32_e32 v25, v47, v16
	v_and_or_b32 v36, 0x4f8, v57, v48
	s_delay_alu instid0(VALU_DEP_2) | instskip(NEXT) | instid1(VALU_DEP_2)
	v_fmac_f32_e32 v25, v59, v15
	v_lshl_add_u32 v36, v36, 2, 0
	s_delay_alu instid0(VALU_DEP_2) | instskip(NEXT) | instid1(VALU_DEP_1)
	v_sub_f32_e32 v25, v60, v25
	v_fma_f32 v37, v60, 2.0, -v25
	ds_store_2addr_b32 v36, v37, v25 offset1:4
.LBB0_33:
	s_wait_alu 0xfffe
	s_or_b32 exec_lo, exec_lo, s1
	v_mul_f32_e32 v7, v7, v16
	v_mul_f32_e32 v25, v26, v16
	;; [unrolled: 1-line block ×3, first 2 shown]
	v_add_nc_u32_e32 v36, 0x200, v0
	v_add_nc_u32_e32 v37, 0xe00, v0
	v_fma_f32 v7, v31, v15, -v7
	v_mul_f32_e32 v21, v21, v16
	v_fma_f32 v14, v14, v15, -v25
	v_mul_f32_e32 v25, v61, v16
	v_fma_f32 v12, v12, v15, -v22
	v_sub_f32_e32 v66, v20, v7
	v_fma_f32 v11, v11, v15, -v21
	v_mul_f32_e32 v26, v29, v16
	v_fma_f32 v25, v35, v15, -v25
	v_dual_mul_f32 v29, v30, v16 :: v_dual_sub_f32 v14, v5, v14
	s_delay_alu instid0(VALU_DEP_4) | instskip(NEXT) | instid1(VALU_DEP_4)
	v_sub_f32_e32 v39, v6, v11
	v_fma_f32 v21, v33, v15, -v26
	s_delay_alu instid0(VALU_DEP_4) | instskip(NEXT) | instid1(VALU_DEP_4)
	v_dual_sub_f32 v74, v13, v25 :: v_dual_mul_f32 v23, v23, v16
	v_fma_f32 v22, v34, v15, -v29
	v_mul_f32_e32 v24, v24, v16
	s_delay_alu instid0(VALU_DEP_4) | instskip(SKIP_4) | instid1(VALU_DEP_3)
	v_sub_f32_e32 v42, v10, v21
	v_sub_f32_e32 v40, v9, v12
	v_fma_f32 v23, v27, v15, -v23
	v_dual_sub_f32 v43, v17, v22 :: v_dual_mul_f32 v8, v8, v16
	v_fma_f32 v24, v28, v15, -v24
	v_dual_sub_f32 v61, v18, v23 :: v_dual_add_nc_u32 v34, 0x400, v0
	v_add_nc_u32_e32 v33, 0xc00, v0
	s_delay_alu instid0(VALU_DEP_4)
	v_fma_f32 v8, v32, v15, -v8
	v_add_nc_u32_e32 v35, 0x800, v0
	v_fma_f32 v44, v5, 2.0, -v14
	v_fma_f32 v45, v6, 2.0, -v39
	;; [unrolled: 1-line block ×4, first 2 shown]
	v_sub_f32_e32 v62, v19, v24
	v_sub_f32_e32 v67, v49, v8
	global_wb scope:SCOPE_SE
	s_wait_dscnt 0x0
	s_barrier_signal -1
	s_barrier_wait -1
	global_inv scope:SCOPE_SE
	ds_load_2addr_b32 v[7:8], v0 offset1:56
	ds_load_2addr_b32 v[5:6], v34 offset0:80 offset1:136
	ds_load_2addr_b32 v[31:32], v33 offset0:16 offset1:72
	;; [unrolled: 1-line block ×9, first 2 shown]
	ds_load_b32 v41, v0 offset:4480
	v_fma_f32 v17, v17, 2.0, -v43
	v_fma_f32 v18, v18, 2.0, -v61
	;; [unrolled: 1-line block ×6, first 2 shown]
	global_wb scope:SCOPE_SE
	s_wait_dscnt 0x0
	s_barrier_signal -1
	s_barrier_wait -1
	global_inv scope:SCOPE_SE
	ds_store_2addr_b32 v50, v44, v14 offset1:4
	ds_store_2addr_b32 v51, v45, v39 offset1:4
	;; [unrolled: 1-line block ×10, first 2 shown]
	s_and_saveexec_b32 s1, s0
	s_cbranch_execz .LBB0_35
; %bb.34:
	v_mul_f32_e32 v13, v59, v16
	v_and_or_b32 v14, 0x4f8, v57, v48
	s_delay_alu instid0(VALU_DEP_2) | instskip(NEXT) | instid1(VALU_DEP_2)
	v_fma_f32 v13, v47, v15, -v13
	v_lshl_add_u32 v14, v14, 2, 0
	s_delay_alu instid0(VALU_DEP_2) | instskip(NEXT) | instid1(VALU_DEP_1)
	v_sub_f32_e32 v13, v38, v13
	v_fma_f32 v15, v38, 2.0, -v13
	ds_store_2addr_b32 v14, v15, v13 offset1:4
.LBB0_35:
	s_wait_alu 0xfffe
	s_or_b32 exec_lo, exec_lo, s1
	v_and_b32_e32 v38, 7, v68
	global_wb scope:SCOPE_SE
	s_wait_dscnt 0x0
	s_barrier_signal -1
	s_barrier_wait -1
	global_inv scope:SCOPE_SE
	v_lshlrev_b32_e32 v13, 4, v38
	v_lshrrev_b32_e32 v61, 3, v70
	v_lshrrev_b32_e32 v62, 3, v72
	v_lshrrev_b32_e32 v39, 3, v68
	v_lshrrev_b32_e32 v40, 3, v69
	global_load_b128 v[42:45], v13, s[8:9] offset:48
	v_mul_u32_u24_e32 v61, 24, v61
	ds_load_2addr_b32 v[17:18], v0 offset1:56
	ds_load_2addr_b32 v[13:14], v34 offset0:80 offset1:136
	ds_load_2addr_b32 v[46:47], v33 offset0:16 offset1:72
	ds_load_2addr_b32 v[48:49], v34 offset0:192 offset1:248
	ds_load_2addr_b32 v[19:20], v0 offset0:112 offset1:168
	ds_load_2addr_b32 v[50:51], v33 offset0:128 offset1:184
	ds_load_2addr_b32 v[52:53], v35 offset0:48 offset1:104
	ds_load_2addr_b32 v[15:16], v36 offset0:96 offset1:152
	ds_load_2addr_b32 v[54:55], v37 offset0:112 offset1:168
	ds_load_2addr_b32 v[56:57], v35 offset0:160 offset1:216
	ds_load_b32 v59, v0 offset:4480
	v_mul_u32_u24_e32 v62, 24, v62
	v_and_b32_e32 v65, 0xff, v68
	v_mul_u32_u24_e32 v67, 24, v39
	v_or_b32_e32 v61, v61, v38
	v_and_b32_e32 v66, 0xff, v69
	v_lshrrev_b32_e32 v60, 3, v58
	v_lshrrev_b32_e32 v63, 3, v71
	;; [unrolled: 1-line block ×3, first 2 shown]
	v_lshl_add_u32 v76, v61, 2, 0
	v_mul_u32_u24_e32 v40, 24, v40
	v_mul_u32_u24_e32 v60, 24, v60
	;; [unrolled: 1-line block ×4, first 2 shown]
	global_wb scope:SCOPE_SE
	s_wait_loadcnt_dscnt 0x0
	s_barrier_signal -1
	s_barrier_wait -1
	global_inv scope:SCOPE_SE
	v_mul_f32_e32 v61, v6, v43
	v_or_b32_e32 v62, v62, v38
	v_or_b32_e32 v70, v40, v38
	;; [unrolled: 1-line block ×5, first 2 shown]
	v_lshl_add_u32 v77, v62, 2, 0
	v_mul_f32_e32 v62, v46, v45
	v_mul_lo_u16 v39, 0xab, v65
	v_mul_lo_u16 v65, 0xab, v66
	v_or_b32_e32 v64, v64, v38
	v_lshl_add_u32 v75, v60, 2, 0
	v_lshl_add_u32 v78, v63, 2, 0
	v_lshrrev_b16 v39, 12, v39
	v_mul_f32_e32 v73, v50, v45
	v_lshl_add_u32 v79, v64, 2, 0
	v_mul_f32_e32 v64, v48, v43
	v_lshl_add_u32 v74, v70, 2, 0
	v_mul_lo_u16 v66, v39, 24
	v_dual_mul_f32 v70, v32, v45 :: v_dual_mul_f32 v83, v27, v43
	v_mul_f32_e32 v90, v56, v43
	v_dual_mul_f32 v82, v52, v43 :: v_dual_mul_f32 v85, v30, v45
	s_delay_alu instid0(VALU_DEP_4) | instskip(SKIP_3) | instid1(VALU_DEP_4)
	v_sub_nc_u16 v40, v68, v66
	v_mul_f32_e32 v63, v31, v45
	v_dual_mul_f32 v66, v47, v45 :: v_dual_mul_f32 v87, v28, v43
	v_dual_mul_f32 v86, v53, v43 :: v_dual_mul_f32 v89, v23, v45
	v_and_b32_e32 v38, 0xff, v40
	v_lshrrev_b16 v40, 12, v65
	v_dual_mul_f32 v65, v25, v43 :: v_dual_mul_f32 v88, v54, v45
	v_fmac_f32_e32 v73, v29, v44
	s_delay_alu instid0(VALU_DEP_4) | instskip(SKIP_3) | instid1(VALU_DEP_4)
	v_mul_u32_u24_e32 v60, 6, v38
	v_dual_mul_f32 v71, v49, v43 :: v_dual_fmac_f32 v62, v31, v44
	v_mul_f32_e32 v31, v59, v45
	v_dual_mul_f32 v93, v24, v45 :: v_dual_mul_f32 v94, v57, v43
	v_lshlrev_b32_e32 v80, 3, v60
	v_mul_f32_e32 v60, v14, v43
	v_fmac_f32_e32 v71, v26, v42
	v_dual_mul_f32 v72, v26, v43 :: v_dual_mul_f32 v81, v29, v45
	v_dual_mul_f32 v84, v51, v45 :: v_dual_mul_f32 v91, v21, v43
	v_dual_mul_f32 v92, v55, v45 :: v_dual_mul_f32 v43, v22, v43
	v_dual_fmac_f32 v60, v6, v42 :: v_dual_fmac_f32 v31, v41, v44
	v_fma_f32 v6, v14, v42, -v61
	v_fma_f32 v14, v46, v44, -v63
	v_fmac_f32_e32 v66, v32, v44
	s_delay_alu instid0(VALU_DEP_4)
	v_dual_mul_f32 v32, v41, v45 :: v_dual_add_f32 v41, v7, v60
	v_fmac_f32_e32 v64, v25, v42
	v_fma_f32 v25, v48, v42, -v65
	v_fma_f32 v45, v47, v44, -v70
	v_fmac_f32_e32 v86, v28, v42
	v_fma_f32 v28, v53, v42, -v87
	v_add_f32_e32 v53, v71, v73
	v_dual_fmac_f32 v82, v27, v42 :: v_dual_add_f32 v47, v8, v64
	v_fma_f32 v27, v52, v42, -v83
	v_fmac_f32_e32 v94, v22, v42
	v_fma_f32 v26, v49, v42, -v72
	v_fma_f32 v29, v50, v44, -v81
	v_dual_fmac_f32 v84, v30, v44 :: v_dual_sub_f32 v49, v25, v45
	v_fma_f32 v30, v51, v44, -v85
	v_fmac_f32_e32 v90, v21, v42
	v_fma_f32 v21, v56, v42, -v91
	v_fmac_f32_e32 v92, v24, v44
	v_fma_f32 v24, v55, v44, -v93
	v_add_f32_e32 v55, v19, v26
	v_fma_f32 v22, v57, v42, -v43
	v_fma_f32 v32, v59, v44, -v32
	v_dual_add_f32 v42, v60, v62 :: v_dual_sub_f32 v63, v82, v84
	v_dual_sub_f32 v43, v6, v14 :: v_dual_fmac_f32 v88, v23, v44
	v_sub_f32_e32 v51, v64, v66
	v_fma_f32 v23, v54, v44, -v89
	v_dual_add_f32 v50, v18, v25 :: v_dual_add_f32 v57, v12, v82
	v_add_f32_e32 v25, v25, v45
	v_dual_add_f32 v44, v17, v6 :: v_dual_add_f32 v65, v86, v88
	v_add_f32_e32 v6, v6, v14
	v_add_f32_e32 v48, v64, v66
	v_dual_add_f32 v61, v20, v27 :: v_dual_sub_f32 v56, v71, v73
	v_dual_add_f32 v89, v94, v31 :: v_dual_sub_f32 v46, v60, v62
	v_dual_sub_f32 v83, v21, v24 :: v_dual_sub_f32 v54, v26, v29
	v_dual_add_f32 v26, v26, v29 :: v_dual_add_f32 v87, v5, v94
	v_dual_add_f32 v59, v82, v84 :: v_dual_add_f32 v52, v11, v71
	v_add_f32_e32 v81, v10, v90
	v_dual_sub_f32 v60, v27, v30 :: v_dual_add_f32 v85, v16, v21
	v_add_f32_e32 v27, v27, v30
	v_dual_add_f32 v64, v9, v86 :: v_dual_sub_f32 v93, v94, v31
	v_dual_sub_f32 v70, v28, v23 :: v_dual_add_f32 v91, v13, v22
	v_dual_add_f32 v71, v15, v28 :: v_dual_add_f32 v28, v28, v23
	v_dual_add_f32 v41, v41, v62 :: v_dual_sub_f32 v72, v86, v88
	v_dual_add_f32 v82, v90, v92 :: v_dual_add_f32 v29, v55, v29
	v_add_f32_e32 v21, v21, v24
	s_delay_alu instid0(VALU_DEP_4) | instskip(SKIP_4) | instid1(VALU_DEP_3)
	v_dual_sub_f32 v86, v90, v92 :: v_dual_add_f32 v23, v71, v23
	v_sub_f32_e32 v90, v22, v32
	v_dual_add_f32 v22, v22, v32 :: v_dual_fmac_f32 v5, -0.5, v89
	v_fma_f32 v7, -0.5, v42, v7
	v_fma_f32 v17, -0.5, v6, v17
	v_dual_fmac_f32 v8, -0.5, v48 :: v_dual_fmac_f32 v13, -0.5, v22
	v_fmac_f32_e32 v18, -0.5, v25
	v_fma_f32 v11, -0.5, v53, v11
	v_lshl_add_u32 v67, v67, 2, 0
	v_add_f32_e32 v25, v52, v73
	v_fma_f32 v19, -0.5, v26, v19
	v_fmac_f32_e32 v12, -0.5, v59
	v_fma_f32 v9, -0.5, v65, v9
	v_fmac_f32_e32 v20, -0.5, v27
	;; [unrolled: 2-line block ×3, first 2 shown]
	v_fmac_f32_e32 v16, -0.5, v21
	v_fmamk_f32 v22, v43, 0xbf5db3d7, v7
	v_add_f32_e32 v14, v44, v14
	v_dual_add_f32 v42, v50, v45 :: v_dual_fmac_f32 v7, 0x3f5db3d7, v43
	v_add_f32_e32 v21, v87, v31
	v_dual_add_f32 v31, v91, v32 :: v_dual_fmamk_f32 v32, v46, 0x3f5db3d7, v17
	v_dual_add_f32 v6, v47, v66 :: v_dual_add_f32 v27, v64, v88
	v_fmac_f32_e32 v17, 0xbf5db3d7, v46
	v_fmamk_f32 v43, v49, 0xbf5db3d7, v8
	v_fmac_f32_e32 v8, 0x3f5db3d7, v49
	v_fmamk_f32 v44, v51, 0x3f5db3d7, v18
	v_dual_add_f32 v26, v57, v84 :: v_dual_fmamk_f32 v45, v54, 0xbf5db3d7, v11
	v_dual_fmac_f32 v18, 0xbf5db3d7, v51 :: v_dual_fmamk_f32 v53, v90, 0xbf5db3d7, v5
	v_fmac_f32_e32 v5, 0x3f5db3d7, v90
	v_add_f32_e32 v30, v61, v30
	v_dual_add_f32 v24, v85, v24 :: v_dual_fmac_f32 v11, 0x3f5db3d7, v54
	v_dual_add_f32 v28, v81, v92 :: v_dual_fmamk_f32 v47, v60, 0xbf5db3d7, v12
	v_fmamk_f32 v46, v56, 0x3f5db3d7, v19
	v_fmac_f32_e32 v19, 0xbf5db3d7, v56
	v_fmac_f32_e32 v12, 0x3f5db3d7, v60
	v_fmamk_f32 v49, v70, 0xbf5db3d7, v9
	v_fmamk_f32 v48, v63, 0x3f5db3d7, v20
	v_fmac_f32_e32 v20, 0xbf5db3d7, v63
	v_fmac_f32_e32 v9, 0x3f5db3d7, v70
	v_fmamk_f32 v50, v72, 0x3f5db3d7, v15
	v_fmac_f32_e32 v15, 0xbf5db3d7, v72
	v_dual_fmamk_f32 v51, v83, 0xbf5db3d7, v10 :: v_dual_lshlrev_b32 v38, 2, v38
	v_dual_fmac_f32 v10, 0x3f5db3d7, v83 :: v_dual_fmamk_f32 v57, v93, 0x3f5db3d7, v13
	v_fmac_f32_e32 v13, 0xbf5db3d7, v93
	ds_store_2addr_b32 v67, v41, v22 offset1:8
	ds_store_b32 v67, v7 offset:64
	ds_store_2addr_b32 v74, v6, v43 offset1:8
	ds_store_b32 v74, v8 offset:64
	;; [unrolled: 2-line block ×7, first 2 shown]
	global_wb scope:SCOPE_SE
	s_wait_dscnt 0x0
	s_barrier_signal -1
	s_barrier_wait -1
	global_inv scope:SCOPE_SE
	ds_load_2addr_b32 v[7:8], v0 offset1:56
	ds_load_2addr_b32 v[5:6], v0 offset0:112 offset1:168
	ds_load_2addr_b32 v[53:54], v34 offset0:80 offset1:136
	;; [unrolled: 1-line block ×9, first 2 shown]
	ds_load_b32 v90, v0 offset:4480
	v_fmamk_f32 v52, v86, 0x3f5db3d7, v16
	v_fmac_f32_e32 v16, 0xbf5db3d7, v86
	global_wb scope:SCOPE_SE
	s_wait_dscnt 0x0
	s_barrier_signal -1
	s_barrier_wait -1
	global_inv scope:SCOPE_SE
	ds_store_2addr_b32 v67, v14, v32 offset1:8
	ds_store_b32 v67, v17 offset:64
	ds_store_2addr_b32 v74, v42, v44 offset1:8
	ds_store_b32 v74, v18 offset:64
	;; [unrolled: 2-line block ×7, first 2 shown]
	global_wb scope:SCOPE_SE
	s_wait_dscnt 0x0
	s_barrier_signal -1
	s_barrier_wait -1
	global_inv scope:SCOPE_SE
	s_clause 0x1
	global_load_b128 v[9:12], v80, s[8:9] offset:176
	global_load_b128 v[13:16], v80, s[8:9] offset:192
	v_mul_lo_u16 v17, v40, 24
	v_and_b32_e32 v18, 0xff, v58
	s_delay_alu instid0(VALU_DEP_2) | instskip(NEXT) | instid1(VALU_DEP_2)
	v_sub_nc_u16 v21, v69, v17
	v_mul_lo_u16 v22, 0xab, v18
	global_load_b128 v[17:20], v80, s[8:9] offset:208
	v_and_b32_e32 v78, 0xffff, v40
	v_and_b32_e32 v57, 0xff, v21
	v_lshrrev_b16 v67, 12, v22
	s_delay_alu instid0(VALU_DEP_3) | instskip(NEXT) | instid1(VALU_DEP_3)
	v_mul_u32_u24_e32 v83, 0x2a0, v78
	v_mul_u32_u24_e32 v21, 6, v57
	s_delay_alu instid0(VALU_DEP_3) | instskip(NEXT) | instid1(VALU_DEP_2)
	v_mul_lo_u16 v22, v67, 24
	v_lshlrev_b32_e32 v29, 3, v21
	s_delay_alu instid0(VALU_DEP_2)
	v_sub_nc_u16 v25, v58, v22
	global_load_b128 v[21:24], v29, s[8:9] offset:176
	v_and_b32_e32 v69, 0xff, v25
	s_clause 0x1
	global_load_b128 v[25:28], v29, s[8:9] offset:192
	global_load_b128 v[29:32], v29, s[8:9] offset:208
	v_and_b32_e32 v76, 0xffff, v39
	v_mul_u32_u24_e32 v41, 6, v69
	s_delay_alu instid0(VALU_DEP_2) | instskip(NEXT) | instid1(VALU_DEP_2)
	v_mul_u32_u24_e32 v82, 0x2a0, v76
	v_lshlrev_b32_e32 v49, 3, v41
	s_clause 0x2
	global_load_b128 v[41:44], v49, s[8:9] offset:176
	global_load_b128 v[45:48], v49, s[8:9] offset:192
	;; [unrolled: 1-line block ×3, first 2 shown]
	ds_load_2addr_b32 v[74:75], v34 offset0:80 offset1:136
	ds_load_2addr_b32 v[76:77], v34 offset0:192 offset1:248
	;; [unrolled: 1-line block ×3, first 2 shown]
	v_and_b32_e32 v67, 0xffff, v67
	ds_load_2addr_b32 v[78:79], v35 offset0:160 offset1:216
	ds_load_2addr_b32 v[80:81], v33 offset0:16 offset1:72
	v_add3_u32 v38, 0, v82, v38
	s_wait_loadcnt_dscnt 0x703
	v_dual_mul_f32 v91, v74, v12 :: v_dual_mul_f32 v92, v77, v14
	v_mul_u32_u24_e32 v67, 0x2a0, v67
	v_dual_mul_f32 v12, v53, v12 :: v_dual_lshlrev_b32 v69, 2, v69
	s_delay_alu instid0(VALU_DEP_3) | instskip(NEXT) | instid1(VALU_DEP_2)
	v_dual_fmac_f32 v91, v53, v11 :: v_dual_fmac_f32 v92, v56, v13
	v_fma_f32 v11, v74, v11, -v12
	s_delay_alu instid0(VALU_DEP_3)
	v_add3_u32 v67, 0, v67, v69
	s_wait_dscnt 0x2
	v_mul_f32_e32 v69, v40, v10
	v_dual_mul_f32 v10, v6, v10 :: v_dual_lshlrev_b32 v57, 2, v57
	s_wait_dscnt 0x1
	v_mul_f32_e32 v12, v78, v16
	s_delay_alu instid0(VALU_DEP_3) | instskip(NEXT) | instid1(VALU_DEP_3)
	v_fmac_f32_e32 v69, v6, v9
	v_fma_f32 v6, v40, v9, -v10
	v_add3_u32 v57, 0, v83, v57
	ds_load_2addr_b32 v[82:83], v0 offset1:56
	ds_load_2addr_b32 v[84:85], v37 offset0:112 offset1:168
	ds_load_2addr_b32 v[86:87], v36 offset0:96 offset1:152
	;; [unrolled: 1-line block ×3, first 2 shown]
	v_mul_f32_e32 v9, v59, v16
	v_fmac_f32_e32 v12, v59, v15
	s_wait_loadcnt_dscnt 0x604
	v_mul_f32_e32 v16, v81, v18
	v_mul_f32_e32 v18, v62, v18
	s_wait_loadcnt_dscnt 0x400
	v_mul_f32_e32 v53, v88, v26
	v_mul_f32_e32 v14, v56, v14
	s_wait_loadcnt 0x1
	v_dual_mul_f32 v56, v87, v42 :: v_dual_mul_f32 v59, v80, v48
	s_delay_alu instid0(VALU_DEP_3) | instskip(NEXT) | instid1(VALU_DEP_3)
	v_fmac_f32_e32 v53, v70, v25
	v_fma_f32 v13, v77, v13, -v14
	v_fma_f32 v14, v78, v15, -v9
	v_mul_f32_e32 v15, v84, v20
	ds_load_2addr_b32 v[9:10], v33 offset0:128 offset1:184
	v_dual_fmac_f32 v59, v61, v47 :: v_dual_fmac_f32 v56, v66, v41
	v_fmac_f32_e32 v15, v63, v19
	v_mul_f32_e32 v20, v63, v20
	v_fmac_f32_e32 v16, v62, v17
	v_fma_f32 v17, v81, v17, -v18
	v_mul_f32_e32 v40, v86, v22
	v_mul_f32_e32 v22, v65, v22
	v_fma_f32 v18, v84, v19, -v20
	v_mul_f32_e32 v20, v75, v24
	v_mul_f32_e32 v24, v54, v24
	ds_load_b32 v19, v0 offset:4480
	global_wb scope:SCOPE_SE
	s_wait_loadcnt_dscnt 0x0
	s_barrier_signal -1
	v_fmac_f32_e32 v20, v54, v23
	v_mul_f32_e32 v54, v85, v32
	v_mul_f32_e32 v32, v64, v32
	v_fma_f32 v23, v75, v23, -v24
	v_fmac_f32_e32 v40, v65, v21
	v_fma_f32 v21, v86, v21, -v22
	v_mul_f32_e32 v22, v60, v28
	v_fmac_f32_e32 v54, v64, v31
	v_fma_f32 v31, v85, v31, -v32
	v_mul_f32_e32 v24, v70, v26
	v_mul_f32_e32 v26, v79, v28
	v_fma_f32 v22, v79, v27, -v22
	v_mul_f32_e32 v28, v9, v30
	v_mul_f32_e32 v32, v73, v50
	v_fma_f32 v24, v88, v25, -v24
	v_dual_fmac_f32 v26, v60, v27 :: v_dual_mul_f32 v27, v66, v42
	v_mul_f32_e32 v60, v10, v50
	s_delay_alu instid0(VALU_DEP_4)
	v_fma_f32 v10, v10, v49, -v32
	v_add_f32_e32 v32, v6, v18
	v_sub_f32_e32 v6, v6, v18
	v_fma_f32 v27, v87, v41, -v27
	v_mul_f32_e32 v30, v72, v30
	v_mul_f32_e32 v48, v61, v48
	;; [unrolled: 1-line block ×3, first 2 shown]
	s_barrier_wait -1
	global_inv scope:SCOPE_SE
	v_fma_f32 v9, v9, v29, -v30
	v_fma_f32 v41, v80, v47, -v48
	;; [unrolled: 1-line block ×3, first 2 shown]
	s_delay_alu instid0(VALU_DEP_3) | instskip(SKIP_3) | instid1(VALU_DEP_2)
	v_add_f32_e32 v47, v23, v9
	v_sub_f32_e32 v9, v23, v9
	v_dual_fmac_f32 v28, v72, v29 :: v_dual_mul_f32 v29, v90, v52
	v_mul_f32_e32 v50, v19, v52
	v_fma_f32 v19, v19, v51, -v29
	v_add_f32_e32 v29, v69, v15
	v_dual_sub_f32 v15, v69, v15 :: v_dual_add_f32 v18, v91, v16
	v_mul_f32_e32 v42, v76, v44
	v_mul_f32_e32 v44, v89, v46
	;; [unrolled: 1-line block ×3, first 2 shown]
	s_delay_alu instid0(VALU_DEP_1) | instskip(SKIP_3) | instid1(VALU_DEP_4)
	v_fma_f32 v30, v89, v45, -v46
	v_add_f32_e32 v46, v21, v31
	v_sub_f32_e32 v21, v21, v31
	v_fmac_f32_e32 v50, v90, v51
	v_dual_add_f32 v48, v27, v19 :: v_dual_add_f32 v51, v30, v41
	v_dual_sub_f32 v30, v41, v30 :: v_dual_add_f32 v41, v18, v29
	v_fmac_f32_e32 v42, v55, v43
	v_add_f32_e32 v43, v11, v17
	v_sub_f32_e32 v11, v11, v17
	v_add_f32_e32 v17, v92, v12
	v_dual_add_f32 v31, v20, v28 :: v_dual_fmac_f32 v60, v73, v49
	v_dual_sub_f32 v20, v20, v28 :: v_dual_sub_f32 v19, v27, v19
	v_sub_f32_e32 v12, v12, v92
	s_delay_alu instid0(VALU_DEP_3) | instskip(SKIP_4) | instid1(VALU_DEP_4)
	v_add_f32_e32 v27, v42, v60
	v_dual_add_f32 v23, v53, v26 :: v_dual_sub_f32 v26, v26, v53
	v_sub_f32_e32 v53, v18, v29
	v_dual_sub_f32 v29, v29, v17 :: v_dual_add_f32 v28, v24, v22
	v_sub_f32_e32 v22, v22, v24
	v_dual_fmac_f32 v44, v71, v45 :: v_dual_sub_f32 v69, v26, v20
	v_add_f32_e32 v45, v13, v14
	v_sub_f32_e32 v13, v14, v13
	s_delay_alu instid0(VALU_DEP_4) | instskip(SKIP_2) | instid1(VALU_DEP_4)
	v_add_f32_e32 v66, v22, v9
	v_sub_f32_e32 v70, v22, v9
	v_dual_sub_f32 v9, v9, v21 :: v_dual_add_f32 v24, v56, v50
	v_dual_sub_f32 v49, v56, v50 :: v_dual_add_f32 v56, v13, v11
	v_add_f32_e32 v65, v26, v20
	v_sub_f32_e32 v42, v42, v60
	s_delay_alu instid0(VALU_DEP_4) | instskip(SKIP_4) | instid1(VALU_DEP_4)
	v_dual_sub_f32 v60, v13, v11 :: v_dual_add_f32 v71, v27, v24
	v_dual_sub_f32 v13, v6, v13 :: v_dual_add_f32 v14, v40, v54
	v_sub_f32_e32 v73, v27, v24
	v_mul_f32_e32 v29, 0x3f4a47b2, v29
	v_sub_f32_e32 v11, v11, v6
	v_add_f32_e32 v61, v31, v14
	v_add_f32_e32 v50, v25, v10
	v_dual_sub_f32 v10, v25, v10 :: v_dual_add_f32 v25, v44, v59
	v_sub_f32_e32 v63, v31, v14
	v_sub_f32_e32 v31, v23, v31
	v_sub_f32_e32 v44, v59, v44
	v_add_f32_e32 v52, v43, v32
	v_dual_sub_f32 v40, v40, v54 :: v_dual_sub_f32 v27, v25, v27
	v_dual_sub_f32 v54, v43, v32 :: v_dual_sub_f32 v43, v45, v43
	v_dual_sub_f32 v14, v14, v23 :: v_dual_add_f32 v23, v23, v61
	v_dual_mul_f32 v61, 0x3d64c772, v31 :: v_dual_sub_f32 v16, v91, v16
	v_add_f32_e32 v75, v44, v42
	v_sub_f32_e32 v18, v17, v18
	v_add_f32_e32 v17, v17, v41
	v_add_f32_e32 v41, v45, v52
	;; [unrolled: 1-line block ×3, first 2 shown]
	v_sub_f32_e32 v59, v12, v16
	s_delay_alu instid0(VALU_DEP_4) | instskip(NEXT) | instid1(VALU_DEP_4)
	v_dual_sub_f32 v16, v16, v15 :: v_dual_add_f32 v7, v7, v17
	v_dual_sub_f32 v12, v15, v12 :: v_dual_add_f32 v79, v82, v41
	s_delay_alu instid0(VALU_DEP_4) | instskip(NEXT) | instid1(VALU_DEP_4)
	v_add_f32_e32 v15, v55, v15
	v_mul_f32_e32 v55, 0x3f08b237, v59
	s_delay_alu instid0(VALU_DEP_4)
	v_dual_mul_f32 v59, 0xbf5ff5aa, v16 :: v_dual_sub_f32 v24, v24, v25
	v_add_f32_e32 v25, v25, v71
	v_dual_sub_f32 v77, v44, v42 :: v_dual_sub_f32 v42, v42, v49
	v_sub_f32_e32 v22, v21, v22
	v_dual_sub_f32 v44, v49, v44 :: v_dual_add_f32 v21, v66, v21
	v_dual_add_f32 v72, v50, v48 :: v_dual_fmamk_f32 v17, v17, 0xbf955555, v7
	v_sub_f32_e32 v32, v32, v45
	v_add_f32_e32 v49, v75, v49
	v_mul_f32_e32 v45, 0x3d64c772, v18
	v_dual_mul_f32 v75, 0x3f08b237, v77 :: v_dual_add_f32 v6, v56, v6
	v_mul_f32_e32 v77, 0xbf5ff5aa, v42
	v_fmamk_f32 v18, v18, 0x3d64c772, v29
	v_fma_f32 v29, 0xbf3bfb3b, v53, -v29
	v_mul_f32_e32 v56, 0x3f08b237, v60
	v_add_f32_e32 v62, v47, v46
	v_dual_sub_f32 v74, v50, v48 :: v_dual_fmamk_f32 v41, v41, 0xbf955555, v79
	v_mul_f32_e32 v60, 0xbf5ff5aa, v11
	v_mul_f32_e32 v24, 0x3f4a47b2, v24
	v_fma_f32 v45, 0x3f3bfb3b, v53, -v45
	v_dual_fmamk_f32 v53, v12, 0xbeae86e6, v55 :: v_dual_sub_f32 v50, v51, v50
	v_fma_f32 v11, 0xbf5ff5aa, v11, -v56
	v_dual_sub_f32 v48, v48, v51 :: v_dual_add_f32 v51, v51, v72
	v_mul_f32_e32 v32, 0x3f4a47b2, v32
	v_sub_f32_e32 v20, v20, v40
	v_mul_f32_e32 v52, 0x3d64c772, v43
	v_mul_f32_e32 v71, 0x3d64c772, v27
	v_fmamk_f32 v27, v27, 0x3d64c772, v24
	v_fmamk_f32 v43, v43, 0x3d64c772, v32
	v_mul_f32_e32 v14, 0x3f4a47b2, v14
	v_fmac_f32_e32 v53, 0xbee1c552, v15
	v_mul_f32_e32 v72, 0x3d64c772, v50
	v_mul_f32_e32 v66, 0x3f08b237, v70
	v_fma_f32 v52, 0x3f3bfb3b, v54, -v52
	v_fma_f32 v32, 0xbf3bfb3b, v54, -v32
	v_fmamk_f32 v54, v13, 0xbeae86e6, v56
	v_fmamk_f32 v31, v31, 0x3d64c772, v14
	v_fma_f32 v56, 0x3f3bfb3b, v63, -v61
	v_fma_f32 v14, 0xbf3bfb3b, v63, -v14
	v_add_f32_e32 v39, v39, v51
	v_dual_sub_f32 v64, v47, v46 :: v_dual_fmamk_f32 v61, v22, 0xbeae86e6, v66
	v_sub_f32_e32 v46, v46, v28
	v_fma_f32 v63, 0x3f3bfb3b, v74, -v72
	v_dual_mul_f32 v70, 0xbf5ff5aa, v9 :: v_dual_sub_f32 v47, v28, v47
	v_dual_sub_f32 v26, v40, v26 :: v_dual_add_f32 v5, v5, v25
	v_add_f32_e32 v28, v28, v62
	v_fma_f32 v9, 0xbf5ff5aa, v9, -v66
	s_delay_alu instid0(VALU_DEP_4)
	v_fma_f32 v22, 0x3eae86e6, v22, -v70
	v_dual_add_f32 v40, v65, v40 :: v_dual_mul_f32 v65, 0x3f08b237, v69
	v_dual_mul_f32 v69, 0xbf5ff5aa, v20 :: v_dual_sub_f32 v78, v30, v10
	v_fmac_f32_e32 v61, 0xbee1c552, v21
	v_fma_f32 v16, 0xbf5ff5aa, v16, -v55
	v_fma_f32 v12, 0x3eae86e6, v12, -v59
	v_dual_add_f32 v55, v83, v28 :: v_dual_add_f32 v76, v30, v10
	v_dual_sub_f32 v30, v19, v30 :: v_dual_fmac_f32 v9, 0xbee1c552, v21
	v_fmac_f32_e32 v22, 0xbee1c552, v21
	v_fmamk_f32 v21, v25, 0xbf955555, v5
	v_fma_f32 v42, 0xbf5ff5aa, v42, -v75
	v_sub_f32_e32 v10, v10, v19
	v_dual_fmac_f32 v12, 0xbee1c552, v15 :: v_dual_add_f32 v25, v45, v17
	v_fma_f32 v20, 0xbf5ff5aa, v20, -v65
	s_delay_alu instid0(VALU_DEP_4)
	v_fmac_f32_e32 v42, 0xbee1c552, v49
	v_fmac_f32_e32 v16, 0xbee1c552, v15
	v_fmamk_f32 v15, v28, 0xbf955555, v55
	v_dual_add_f32 v19, v76, v19 :: v_dual_mul_f32 v76, 0x3f08b237, v78
	v_add_f32_e32 v18, v18, v17
	v_add_f32_e32 v17, v29, v17
	;; [unrolled: 1-line block ×3, first 2 shown]
	v_fma_f32 v13, 0x3eae86e6, v13, -v60
	v_fmamk_f32 v60, v26, 0xbeae86e6, v65
	v_dual_fmamk_f32 v65, v30, 0xbeae86e6, v76 :: v_dual_add_f32 v8, v8, v23
	v_fma_f32 v26, 0x3eae86e6, v26, -v69
	v_fma_f32 v24, 0xbf3bfb3b, v73, -v24
	v_mul_f32_e32 v62, 0x3d64c772, v47
	s_delay_alu instid0(VALU_DEP_4)
	v_fmac_f32_e32 v65, 0xbee1c552, v19
	v_fmac_f32_e32 v11, 0xbee1c552, v6
	;; [unrolled: 1-line block ×3, first 2 shown]
	v_mul_f32_e32 v48, 0x3f4a47b2, v48
	v_fmac_f32_e32 v54, 0xbee1c552, v6
	v_fmamk_f32 v6, v23, 0xbf955555, v8
	v_fmamk_f32 v23, v51, 0xbf955555, v39
	v_mul_f32_e32 v78, 0xbf5ff5aa, v10
	v_fmamk_f32 v50, v50, 0x3d64c772, v48
	v_mul_f32_e32 v46, 0x3f4a47b2, v46
	v_fma_f32 v59, 0x3f3bfb3b, v64, -v62
	v_dual_add_f32 v31, v31, v6 :: v_dual_fmac_f32 v26, 0xbee1c552, v40
	v_fma_f32 v62, 0x3f3bfb3b, v73, -v71
	s_delay_alu instid0(VALU_DEP_4)
	v_fmamk_f32 v47, v47, 0x3d64c772, v46
	v_fma_f32 v46, 0xbf3bfb3b, v64, -v46
	v_fmamk_f32 v64, v44, 0xbeae86e6, v75
	v_fma_f32 v44, 0x3eae86e6, v44, -v77
	v_add_f32_e32 v28, v52, v41
	v_dual_add_f32 v32, v47, v15 :: v_dual_add_f32 v47, v13, v17
	s_delay_alu instid0(VALU_DEP_4) | instskip(NEXT) | instid1(VALU_DEP_4)
	v_fmac_f32_e32 v64, 0xbee1c552, v49
	v_dual_fmac_f32 v44, 0xbee1c552, v49 :: v_dual_sub_f32 v49, v25, v11
	v_add_f32_e32 v11, v11, v25
	v_fma_f32 v10, 0xbf5ff5aa, v10, -v76
	v_sub_f32_e32 v13, v17, v13
	v_fma_f32 v30, 0x3eae86e6, v30, -v78
	v_fma_f32 v48, 0xbf3bfb3b, v74, -v48
	v_fmac_f32_e32 v20, 0xbee1c552, v40
	v_fmac_f32_e32 v10, 0xbee1c552, v19
	v_add_f32_e32 v45, v63, v23
	v_dual_fmac_f32 v30, 0xbee1c552, v19 :: v_dual_add_f32 v19, v43, v41
	v_add_f32_e32 v41, v59, v15
	v_add_f32_e32 v43, v62, v21
	s_delay_alu instid0(VALU_DEP_4) | instskip(NEXT) | instid1(VALU_DEP_4)
	v_dual_add_f32 v59, v42, v45 :: v_dual_sub_f32 v42, v45, v42
	v_dual_add_f32 v51, v53, v19 :: v_dual_fmac_f32 v60, 0xbee1c552, v40
	v_add_f32_e32 v40, v56, v6
	v_add_f32_e32 v6, v14, v6
	v_dual_add_f32 v14, v46, v15 :: v_dual_add_f32 v15, v27, v21
	v_add_f32_e32 v27, v50, v23
	v_add_f32_e32 v21, v24, v21
	v_dual_add_f32 v23, v48, v23 :: v_dual_add_f32 v24, v54, v18
	v_dual_sub_f32 v48, v29, v12 :: v_dual_add_f32 v29, v12, v29
	v_sub_f32_e32 v12, v18, v54
	v_sub_f32_e32 v46, v19, v53
	v_add_f32_e32 v50, v16, v28
	v_sub_f32_e32 v28, v28, v16
	v_dual_add_f32 v16, v61, v31 :: v_dual_add_f32 v17, v22, v6
	v_dual_sub_f32 v53, v14, v26 :: v_dual_sub_f32 v18, v40, v9
	v_dual_add_f32 v9, v9, v40 :: v_dual_sub_f32 v6, v6, v22
	v_add_f32_e32 v19, v65, v15
	v_sub_f32_e32 v15, v15, v65
	v_sub_f32_e32 v22, v43, v10
	v_add_f32_e32 v10, v10, v43
	v_add_f32_e32 v43, v64, v27
	;; [unrolled: 1-line block ×3, first 2 shown]
	v_dual_sub_f32 v40, v41, v20 :: v_dual_add_f32 v41, v26, v14
	v_sub_f32_e32 v14, v31, v61
	v_dual_add_f32 v20, v30, v21 :: v_dual_sub_f32 v21, v21, v30
	v_sub_f32_e32 v52, v32, v60
	v_add_f32_e32 v31, v60, v32
	v_sub_f32_e32 v32, v27, v64
	v_sub_f32_e32 v56, v23, v44
	v_add_f32_e32 v30, v44, v23
	ds_store_2addr_b32 v38, v7, v24 offset1:24
	ds_store_2addr_b32 v38, v47, v49 offset0:48 offset1:72
	ds_store_2addr_b32 v38, v11, v13 offset0:96 offset1:120
	ds_store_b32 v38, v12 offset:576
	ds_store_2addr_b32 v57, v8, v16 offset1:24
	ds_store_2addr_b32 v57, v17, v18 offset0:48 offset1:72
	ds_store_2addr_b32 v57, v9, v6 offset0:96 offset1:120
	ds_store_b32 v57, v14 offset:576
	ds_store_2addr_b32 v67, v5, v19 offset1:24
	ds_store_2addr_b32 v67, v20, v22 offset0:48 offset1:72
	ds_store_2addr_b32 v67, v10, v21 offset0:96 offset1:120
	ds_store_b32 v67, v15 offset:576
	global_wb scope:SCOPE_SE
	s_wait_dscnt 0x0
	s_barrier_signal -1
	s_barrier_wait -1
	global_inv scope:SCOPE_SE
	ds_load_2addr_b32 v[5:6], v0 offset1:56
	ds_load_2addr_b32 v[9:10], v0 offset0:112 offset1:168
	ds_load_2addr_b32 v[11:12], v34 offset0:80 offset1:136
	;; [unrolled: 1-line block ×9, first 2 shown]
	ds_load_b32 v27, v0 offset:4480
	global_wb scope:SCOPE_SE
	s_wait_dscnt 0x0
	s_barrier_signal -1
	s_barrier_wait -1
	global_inv scope:SCOPE_SE
	ds_store_2addr_b32 v38, v79, v46 offset1:24
	ds_store_2addr_b32 v38, v48, v50 offset0:48 offset1:72
	ds_store_2addr_b32 v38, v28, v29 offset0:96 offset1:120
	ds_store_b32 v38, v51 offset:576
	ds_store_2addr_b32 v57, v55, v52 offset1:24
	ds_store_2addr_b32 v57, v53, v54 offset0:48 offset1:72
	ds_store_2addr_b32 v57, v40, v41 offset0:96 offset1:120
	ds_store_b32 v57, v31 offset:576
	;; [unrolled: 4-line block ×3, first 2 shown]
	global_wb scope:SCOPE_SE
	s_wait_dscnt 0x0
	s_barrier_signal -1
	s_barrier_wait -1
	global_inv scope:SCOPE_SE
	s_and_saveexec_b32 s0, vcc_lo
	s_cbranch_execz .LBB0_37
; %bb.36:
	v_mul_u32_u24_e32 v7, 6, v58
	v_mul_u32_u24_e32 v8, 6, v68
	v_lshrrev_b32_e32 v70, 3, v68
	v_mul_lo_u32 v77, s2, v4
	s_delay_alu instid0(VALU_DEP_4)
	v_lshlrev_b32_e32 v7, 3, v7
	s_clause 0x2
	global_load_b128 v[28:31], v7, s[8:9] offset:1344
	global_load_b128 v[32:35], v7, s[8:9] offset:1360
	;; [unrolled: 1-line block ×3, first 2 shown]
	v_dual_mov_b32 v8, 0 :: v_dual_lshlrev_b32 v7, 3, v8
	v_add_nc_u32_e32 v86, 56, v68
	s_clause 0x2
	global_load_b128 v[40:43], v7, s[8:9] offset:1328
	global_load_b128 v[44:47], v7, s[8:9] offset:1344
	;; [unrolled: 1-line block ×3, first 2 shown]
	v_mad_u32_u24 v7, v58, 6, 0xfffffeb0
	v_lshrrev_b32_e32 v71, 3, v86
	v_mul_hi_u32 v80, 0x18618619, v70
	v_add_nc_u32_e32 v69, 0x200, v0
	v_add_nc_u32_e32 v78, 0xc00, v0
	v_lshlrev_b64_e32 v[52:53], 3, v[7:8]
	v_mul_lo_u32 v7, s3, v3
	v_mad_co_u64_u32 v[3:4], null, s2, v3, 0
	v_add_nc_u32_e32 v81, 0x800, v0
	v_add_nc_u32_e32 v83, 0x400, v0
	v_add_co_u32 v60, vcc_lo, s8, v52
	s_wait_alu 0xfffd
	v_add_co_ci_u32_e32 v61, vcc_lo, s9, v53, vcc_lo
	s_clause 0x2
	global_load_b128 v[52:55], v[60:61], off offset:1328
	global_load_b128 v[56:59], v[60:61], off offset:1360
	;; [unrolled: 1-line block ×3, first 2 shown]
	ds_load_b32 v85, v0 offset:4480
	ds_load_2addr_b32 v[64:65], v0 offset0:112 offset1:168
	v_add_nc_u32_e32 v79, 0xe00, v0
	ds_load_2addr_b32 v[66:67], v0 offset1:56
	v_lshlrev_b64_e32 v[0:1], 3, v[1:2]
	v_mul_hi_u32 v2, 0x18618619, v71
	v_add3_u32 v4, v4, v77, v7
	v_lshrrev_b32_e32 v7, 1, v80
	s_delay_alu instid0(VALU_DEP_3) | instskip(NEXT) | instid1(VALU_DEP_3)
	v_lshrrev_b32_e32 v87, 1, v2
	v_lshlrev_b64_e32 v[2:3], 3, v[3:4]
	s_delay_alu instid0(VALU_DEP_3) | instskip(NEXT) | instid1(VALU_DEP_3)
	v_mul_lo_u32 v4, 0xa8, v7
	v_mul_lo_u32 v7, 0xa8, v87
	s_delay_alu instid0(VALU_DEP_3) | instskip(SKIP_1) | instid1(VALU_DEP_4)
	v_add_co_u32 v2, vcc_lo, s6, v2
	s_wait_alu 0xfffd
	v_add_co_ci_u32_e32 v3, vcc_lo, s7, v3, vcc_lo
	s_delay_alu instid0(VALU_DEP_4) | instskip(NEXT) | instid1(VALU_DEP_3)
	v_sub_nc_u32_e32 v4, v68, v4
	v_add_co_u32 v0, vcc_lo, v2, v0
	s_wait_alu 0xfffd
	s_delay_alu instid0(VALU_DEP_3) | instskip(NEXT) | instid1(VALU_DEP_3)
	v_add_co_ci_u32_e32 v1, vcc_lo, v3, v1, vcc_lo
	v_lshlrev_b32_e32 v3, 3, v4
	v_sub_nc_u32_e32 v2, v86, v7
	s_wait_loadcnt 0x8
	v_mul_f32_e32 v4, v18, v29
	ds_load_2addr_b32 v[69:70], v69 offset0:96 offset1:152
	ds_load_2addr_b32 v[71:72], v78 offset0:16 offset1:72
	;; [unrolled: 1-line block ×4, first 2 shown]
	s_wait_dscnt 0x2
	v_mul_f32_e32 v7, v31, v71
	ds_load_2addr_b32 v[77:78], v78 offset0:128 offset1:184
	ds_load_2addr_b32 v[79:80], v79 offset0:112 offset1:168
	s_wait_dscnt 0x3
	v_dual_mul_f32 v86, v29, v74 :: v_dual_mul_f32 v29, v23, v31
	s_wait_loadcnt 0x7
	v_mul_f32_e32 v31, v35, v85
	s_delay_alu instid0(VALU_DEP_2)
	v_dual_fmac_f32 v7, v23, v30 :: v_dual_fmac_f32 v86, v18, v28
	v_fma_f32 v18, v28, v74, -v4
	v_fma_f32 v23, v30, v71, -v29
	v_mul_f32_e32 v28, v27, v35
	v_mul_f32_e32 v30, v16, v33
	ds_load_2addr_b32 v[81:82], v81 offset0:160 offset1:216
	ds_load_2addr_b32 v[83:84], v83 offset0:80 offset1:136
	v_fmac_f32_e32 v31, v27, v34
	s_wait_loadcnt 0x6
	v_mul_f32_e32 v27, v37, v70
	s_wait_loadcnt_dscnt 0x404
	v_mul_f32_e32 v35, v45, v76
	v_fma_f32 v28, v34, v85, -v28
	v_mul_f32_e32 v34, v41, v65
	s_wait_dscnt 0x3
	v_mul_f32_e32 v29, v33, v78
	s_delay_alu instid0(VALU_DEP_2) | instskip(NEXT) | instid1(VALU_DEP_2)
	v_dual_mul_f32 v33, v39, v75 :: v_dual_fmac_f32 v34, v10, v40
	v_fmac_f32_e32 v29, v16, v32
	v_fma_f32 v16, v32, v78, -v30
	v_mul_f32_e32 v30, v22, v37
	v_mul_f32_e32 v32, v25, v39
	v_fmac_f32_e32 v33, v25, v38
	v_mul_f32_e32 v39, v10, v41
	v_mul_f32_e32 v41, v13, v47
	s_wait_dscnt 0x0
	v_mul_f32_e32 v37, v43, v83
	v_fma_f32 v25, v38, v75, -v32
	v_dual_mul_f32 v32, v47, v81 :: v_dual_fmac_f32 v27, v22, v36
	v_fma_f32 v22, v36, v70, -v30
	v_mul_f32_e32 v36, v26, v45
	s_delay_alu instid0(VALU_DEP_3)
	v_dual_fmac_f32 v35, v26, v44 :: v_dual_fmac_f32 v32, v13, v46
	s_wait_loadcnt 0x3
	v_mul_f32_e32 v26, v49, v72
	v_mul_f32_e32 v30, v51, v79
	;; [unrolled: 1-line block ×4, first 2 shown]
	v_fma_f32 v36, v44, v76, -v36
	v_fmac_f32_e32 v26, v24, v48
	v_mul_f32_e32 v24, v24, v49
	v_fmac_f32_e32 v30, v19, v50
	s_wait_loadcnt 0x1
	v_dual_fmac_f32 v37, v11, v42 :: v_dual_mul_f32 v44, v20, v59
	v_fma_f32 v10, v50, v79, -v38
	v_fma_f32 v11, v40, v65, -v39
	;; [unrolled: 1-line block ×3, first 2 shown]
	v_mul_f32_e32 v38, v53, v69
	v_fma_f32 v24, v42, v83, -v43
	v_mul_f32_e32 v42, v55, v84
	v_fma_f32 v13, v46, v81, -v41
	s_wait_loadcnt 0x0
	v_dual_mul_f32 v39, v59, v80 :: v_dual_mul_f32 v46, v17, v61
	v_dual_mul_f32 v40, v63, v82 :: v_dual_mul_f32 v41, v61, v73
	v_dual_sub_f32 v50, v27, v31 :: v_dual_mul_f32 v43, v57, v77
	v_mul_f32_e32 v45, v21, v53
	v_dual_mul_f32 v47, v14, v63 :: v_dual_mul_f32 v48, v15, v57
	v_mul_f32_e32 v49, v12, v55
	v_sub_f32_e32 v51, v7, v86
	v_add_f32_e32 v27, v27, v31
	v_sub_f32_e32 v31, v33, v29
	v_dual_add_f32 v7, v7, v86 :: v_dual_fmac_f32 v38, v21, v52
	v_add_f32_e32 v53, v22, v28
	v_dual_add_f32 v29, v33, v29 :: v_dual_sub_f32 v22, v22, v28
	v_add_f32_e32 v28, v25, v16
	v_dual_sub_f32 v16, v25, v16 :: v_dual_add_f32 v33, v23, v18
	v_dual_sub_f32 v18, v23, v18 :: v_dual_sub_f32 v25, v32, v35
	v_dual_add_f32 v32, v32, v35 :: v_dual_sub_f32 v23, v34, v30
	v_add_f32_e32 v30, v34, v30
	v_sub_f32_e32 v34, v37, v26
	v_add_f32_e32 v35, v11, v10
	v_add_f32_e32 v26, v37, v26
	v_dual_add_f32 v37, v13, v36 :: v_dual_fmac_f32 v40, v14, v62
	v_dual_sub_f32 v10, v11, v10 :: v_dual_add_f32 v11, v24, v19
	v_dual_sub_f32 v13, v13, v36 :: v_dual_fmac_f32 v42, v12, v54
	v_sub_f32_e32 v19, v24, v19
	v_fmac_f32_e32 v39, v20, v58
	v_fmac_f32_e32 v41, v17, v60
	;; [unrolled: 1-line block ×3, first 2 shown]
	v_fma_f32 v12, v58, v80, -v44
	v_fma_f32 v14, v52, v69, -v45
	;; [unrolled: 1-line block ×6, first 2 shown]
	v_sub_f32_e32 v24, v50, v51
	v_sub_f32_e32 v36, v51, v31
	v_dual_add_f32 v44, v51, v31 :: v_dual_sub_f32 v45, v53, v33
	v_sub_f32_e32 v46, v33, v28
	v_dual_add_f32 v47, v53, v28 :: v_dual_sub_f32 v48, v27, v7
	v_dual_add_f32 v51, v27, v29 :: v_dual_sub_f32 v58, v30, v32
	v_dual_sub_f32 v52, v22, v18 :: v_dual_sub_f32 v49, v7, v29
	v_sub_f32_e32 v56, v37, v11
	v_sub_f32_e32 v54, v18, v16
	v_dual_add_f32 v18, v18, v16 :: v_dual_sub_f32 v31, v31, v50
	v_sub_f32_e32 v62, v13, v19
	v_dual_sub_f32 v28, v28, v53 :: v_dual_sub_f32 v27, v29, v27
	v_add_f32_e32 v60, v30, v26
	v_dual_sub_f32 v16, v16, v22 :: v_dual_sub_f32 v29, v23, v25
	v_sub_f32_e32 v53, v25, v34
	v_add_f32_e32 v25, v25, v34
	v_sub_f32_e32 v59, v32, v26
	v_sub_f32_e32 v61, v10, v13
	v_add_f32_e32 v13, v13, v19
	v_sub_f32_e32 v19, v19, v10
	v_dual_sub_f32 v55, v35, v37 :: v_dual_sub_f32 v26, v26, v30
	v_dual_add_f32 v57, v35, v11 :: v_dual_add_f32 v70, v21, v20
	v_sub_f32_e32 v34, v34, v23
	v_sub_f32_e32 v35, v11, v35
	v_dual_sub_f32 v30, v38, v39 :: v_dual_sub_f32 v11, v40, v41
	v_sub_f32_e32 v63, v42, v43
	v_add_f32_e32 v65, v14, v12
	v_dual_add_f32 v69, v17, v15 :: v_dual_add_f32 v18, v22, v18
	v_dual_add_f32 v38, v38, v39 :: v_dual_add_f32 v39, v40, v41
	v_add_f32_e32 v40, v42, v43
	v_sub_f32_e32 v14, v14, v12
	v_sub_f32_e32 v12, v17, v15
	;; [unrolled: 1-line block ×3, first 2 shown]
	v_mul_f32_e32 v17, 0x3f08b237, v36
	v_dual_add_f32 v20, v50, v44 :: v_dual_add_f32 v33, v33, v47
	v_add_f32_e32 v74, v38, v40
	v_mul_f32_e32 v42, 0x3d64c772, v49
	v_mul_f32_e32 v22, 0xbf5ff5aa, v31
	v_mul_f32_e32 v41, 0x3f4a47b2, v48
	v_dual_mul_f32 v44, 0xbf5ff5aa, v16 :: v_dual_add_f32 v23, v23, v25
	v_mul_f32_e32 v50, 0x3d64c772, v59
	v_dual_mul_f32 v43, 0x3f08b237, v54 :: v_dual_sub_f32 v72, v38, v39
	v_mul_f32_e32 v54, 0xbf5ff5aa, v19
	v_dual_mul_f32 v21, 0x3f4a47b2, v45 :: v_dual_add_f32 v32, v32, v60
	v_dual_mul_f32 v36, 0x3d64c772, v46 :: v_dual_add_f32 v7, v7, v51
	v_mul_f32_e32 v46, 0x3f08b237, v53
	v_dual_mul_f32 v25, 0x3f4a47b2, v55 :: v_dual_sub_f32 v38, v40, v38
	v_dual_mul_f32 v47, 0x3d64c772, v56 :: v_dual_sub_f32 v76, v12, v15
	v_mul_f32_e32 v49, 0x3f4a47b2, v58
	v_dual_add_f32 v13, v10, v13 :: v_dual_fmamk_f32 v48, v48, 0x3f4a47b2, v42
	v_dual_sub_f32 v56, v30, v11 :: v_dual_add_f32 v37, v37, v57
	v_dual_sub_f32 v57, v11, v63 :: v_dual_sub_f32 v60, v65, v69
	v_dual_sub_f32 v73, v39, v40 :: v_dual_fmamk_f32 v40, v24, 0xbeae86e6, v17
	v_mul_f32_e32 v51, 0x3f08b237, v62
	v_sub_f32_e32 v62, v69, v70
	v_add_f32_e32 v10, v64, v33
	v_fmamk_f32 v64, v52, 0xbeae86e6, v43
	v_fma_f32 v22, 0x3eae86e6, v24, -v22
	v_fma_f32 v24, 0xbf3bfb3b, v27, -v41
	;; [unrolled: 1-line block ×5, first 2 shown]
	v_add_f32_e32 v59, v11, v63
	v_add_f32_e32 v71, v65, v70
	v_dual_add_f32 v77, v12, v15 :: v_dual_fmac_f32 v40, 0xbee1c552, v20
	v_sub_f32_e32 v63, v63, v30
	v_fmamk_f32 v45, v45, 0x3f4a47b2, v36
	v_fma_f32 v21, 0xbf3bfb3b, v28, -v21
	v_fma_f32 v28, 0x3f3bfb3b, v28, -v36
	v_fma_f32 v36, 0xbf5ff5aa, v16, -v43
	v_add_f32_e32 v9, v9, v7
	v_fma_f32 v16, 0x3f3bfb3b, v27, -v42
	v_fmamk_f32 v42, v29, 0xbeae86e6, v46
	v_dual_mul_f32 v53, 0xbf5ff5aa, v34 :: v_dual_add_f32 v30, v30, v59
	v_add_f32_e32 v11, v5, v32
	v_fma_f32 v34, 0xbf5ff5aa, v34, -v46
	s_delay_alu instid0(VALU_DEP_4)
	v_fmac_f32_e32 v42, 0xbee1c552, v23
	v_dual_mul_f32 v46, 0x3d64c772, v62 :: v_dual_sub_f32 v75, v14, v12
	v_dual_add_f32 v12, v66, v37 :: v_dual_fmac_f32 v31, 0xbee1c552, v20
	v_fmac_f32_e32 v52, 0xbee1c552, v13
	v_fmamk_f32 v33, v33, 0xbf955555, v10
	v_dual_sub_f32 v65, v70, v65 :: v_dual_fmac_f32 v64, 0xbee1c552, v18
	v_dual_sub_f32 v15, v15, v14 :: v_dual_fmac_f32 v22, 0xbee1c552, v20
	v_fmamk_f32 v43, v61, 0xbeae86e6, v51
	v_fma_f32 v44, 0x3eae86e6, v29, -v53
	v_fma_f32 v5, 0xbf3bfb3b, v35, -v25
	;; [unrolled: 1-line block ×6, first 2 shown]
	v_dual_mul_f32 v26, 0x3f08b237, v57 :: v_dual_add_f32 v39, v39, v74
	v_dual_add_f32 v54, v14, v77 :: v_dual_fmac_f32 v41, 0xbee1c552, v18
	v_fmac_f32_e32 v44, 0xbee1c552, v23
	v_fmac_f32_e32 v36, 0xbee1c552, v18
	v_fmamk_f32 v18, v37, 0xbf955555, v12
	v_dual_fmamk_f32 v20, v32, 0xbf955555, v11 :: v_dual_add_f32 v21, v21, v33
	v_fmamk_f32 v7, v7, 0xbf955555, v9
	v_fmamk_f32 v17, v55, 0x3f4a47b2, v47
	v_add_f32_e32 v47, v69, v71
	s_delay_alu instid0(VALU_DEP_4) | instskip(NEXT) | instid1(VALU_DEP_4)
	v_dual_mul_f32 v55, 0xbf5ff5aa, v63 :: v_dual_add_f32 v62, v25, v20
	v_dual_fmamk_f32 v27, v58, 0x3f4a47b2, v50 :: v_dual_add_f32 v24, v24, v7
	v_dual_mul_f32 v35, 0x3f4a47b2, v60 :: v_dual_add_f32 v28, v28, v33
	v_dual_mul_f32 v49, 0x3f4a47b2, v72 :: v_dual_add_f32 v32, v29, v18
	v_mul_f32_e32 v50, 0x3d64c772, v73
	v_fmac_f32_e32 v34, 0xbee1c552, v23
	v_fmamk_f32 v58, v56, 0xbeae86e6, v26
	v_fmac_f32_e32 v43, 0xbee1c552, v13
	v_dual_fmac_f32 v51, 0xbee1c552, v13 :: v_dual_add_f32 v14, v67, v47
	v_fma_f32 v55, 0x3eae86e6, v56, -v55
	s_delay_alu instid0(VALU_DEP_4)
	v_fmac_f32_e32 v58, 0xbee1c552, v30
	v_fma_f32 v61, 0xbf5ff5aa, v63, -v26
	v_add_f32_e32 v23, v45, v33
	v_mul_f32_e32 v53, 0x3f08b237, v76
	v_add_f32_e32 v13, v6, v39
	v_add_f32_e32 v45, v5, v18
	v_fmamk_f32 v37, v60, 0x3f4a47b2, v46
	v_fma_f32 v56, 0xbf3bfb3b, v65, -v35
	v_fma_f32 v49, 0xbf3bfb3b, v38, -v49
	;; [unrolled: 1-line block ×3, first 2 shown]
	v_dual_add_f32 v26, v48, v7 :: v_dual_fmamk_f32 v47, v47, 0xbf955555, v14
	v_fmac_f32_e32 v61, 0xbee1c552, v30
	v_dual_fmac_f32 v55, 0xbee1c552, v30 :: v_dual_add_f32 v6, v40, v23
	v_fmamk_f32 v60, v75, 0xbeae86e6, v53
	v_fmamk_f32 v39, v39, 0xbf955555, v13
	v_dual_add_f32 v63, v19, v20 :: v_dual_sub_f32 v30, v32, v34
	v_dual_add_f32 v32, v34, v32 :: v_dual_add_f32 v33, v17, v18
	v_dual_add_f32 v35, v27, v20 :: v_dual_sub_f32 v18, v28, v31
	v_add_f32_e32 v20, v31, v28
	v_add_f32_e32 v28, v44, v45
	;; [unrolled: 1-line block ×3, first 2 shown]
	v_dual_mul_f32 v57, 0xbf5ff5aa, v15 :: v_dual_add_f32 v16, v22, v21
	v_fma_f32 v46, 0x3f3bfb3b, v65, -v46
	v_fma_f32 v53, 0xbf5ff5aa, v15, -v53
	v_fmac_f32_e32 v60, 0xbee1c552, v54
	v_fmamk_f32 v59, v72, 0x3f4a47b2, v50
	v_sub_f32_e32 v5, v26, v64
	v_dual_sub_f32 v15, v24, v41 :: v_dual_sub_f32 v22, v21, v22
	v_add_f32_e32 v21, v41, v24
	v_dual_sub_f32 v24, v23, v40 :: v_dual_add_f32 v23, v64, v26
	v_dual_add_f32 v26, v42, v33 :: v_dual_add_f32 v17, v36, v7
	v_sub_f32_e32 v19, v7, v36
	v_sub_f32_e32 v34, v45, v44
	v_add_f32_e32 v7, v37, v47
	v_fma_f32 v57, 0x3eae86e6, v75, -v57
	v_dual_sub_f32 v36, v33, v42 :: v_dual_sub_f32 v25, v35, v43
	v_add_f32_e32 v35, v43, v35
	v_add_f32_e32 v33, v56, v47
	v_add_f32_e32 v43, v46, v47
	v_dual_fmac_f32 v53, 0xbee1c552, v54 :: v_dual_add_f32 v46, v38, v39
	v_add_co_u32 v3, vcc_lo, v0, v3
	s_delay_alu instid0(VALU_DEP_3)
	v_add_f32_e32 v44, v61, v43
	v_add_f32_e32 v38, v58, v7
	v_add_f32_e32 v31, v59, v39
	s_wait_alu 0xfffd
	v_add_co_ci_u32_e32 v4, vcc_lo, 0, v1, vcc_lo
	v_dual_sub_f32 v42, v43, v61 :: v_dual_fmac_f32 v57, 0xbee1c552, v54
	v_dual_add_f32 v40, v55, v33 :: v_dual_add_f32 v41, v53, v46
	v_dual_sub_f32 v43, v46, v53 :: v_dual_sub_f32 v46, v33, v55
	v_add_f32_e32 v33, v52, v62
	v_sub_f32_e32 v37, v31, v60
	v_add_f32_e32 v47, v60, v31
	v_sub_f32_e32 v31, v63, v51
	v_add_f32_e32 v29, v51, v63
	v_add_f32_e32 v45, v49, v39
	v_mad_co_u64_u32 v[49:50], null, 0x498, v87, v[2:3]
	s_clause 0x3
	global_store_b64 v[3:4], v[11:12], off
	global_store_b64 v[3:4], v[35:36], off offset:1344
	global_store_b64 v[3:4], v[33:34], off offset:2688
	;; [unrolled: 1-line block ×3, first 2 shown]
	v_add_nc_u32_e32 v31, 0x70, v68
	v_sub_f32_e32 v27, v62, v52
	s_clause 0x2
	global_store_b64 v[3:4], v[29:30], off offset:5376
	global_store_b64 v[3:4], v[27:28], off offset:6720
	;; [unrolled: 1-line block ×3, first 2 shown]
	v_lshrrev_b32_e32 v4, 3, v31
	v_dual_sub_f32 v48, v7, v58 :: v_dual_add_nc_u32 v7, 0xa8, v49
	v_dual_mov_b32 v50, v8 :: v_dual_sub_f32 v39, v45, v57
	s_delay_alu instid0(VALU_DEP_3) | instskip(SKIP_1) | instid1(VALU_DEP_4)
	v_mul_hi_u32 v4, 0x18618619, v4
	v_add_f32_e32 v45, v57, v45
	v_lshlrev_b64_e32 v[2:3], 3, v[7:8]
	v_add_nc_u32_e32 v7, 0x150, v49
	v_lshlrev_b64_e32 v[11:12], 3, v[49:50]
	s_delay_alu instid0(VALU_DEP_2) | instskip(SKIP_2) | instid1(VALU_DEP_4)
	v_lshlrev_b64_e32 v[25:26], 3, v[7:8]
	v_add_nc_u32_e32 v7, 0x1f8, v49
	v_lshrrev_b32_e32 v32, 1, v4
	v_add_co_u32 v11, vcc_lo, v0, v11
	s_wait_alu 0xfffd
	v_add_co_ci_u32_e32 v12, vcc_lo, v1, v12, vcc_lo
	v_add_co_u32 v2, vcc_lo, v0, v2
	v_lshlrev_b64_e32 v[27:28], 3, v[7:8]
	v_add_nc_u32_e32 v7, 0x2a0, v49
	v_mul_lo_u32 v4, 0xa8, v32
	s_wait_alu 0xfffd
	v_add_co_ci_u32_e32 v3, vcc_lo, v1, v3, vcc_lo
	v_add_co_u32 v25, vcc_lo, v0, v25
	s_wait_alu 0xfffd
	v_add_co_ci_u32_e32 v26, vcc_lo, v1, v26, vcc_lo
	v_lshlrev_b64_e32 v[29:30], 3, v[7:8]
	v_add_nc_u32_e32 v7, 0x348, v49
	v_add_co_u32 v27, vcc_lo, v0, v27
	s_wait_alu 0xfffd
	v_add_co_ci_u32_e32 v28, vcc_lo, v1, v28, vcc_lo
	v_sub_nc_u32_e32 v4, v31, v4
	s_clause 0x3
	global_store_b64 v[11:12], v[13:14], off
	global_store_b64 v[2:3], v[47:48], off
	;; [unrolled: 1-line block ×4, first 2 shown]
	v_lshlrev_b64_e32 v[2:3], 3, v[7:8]
	v_add_nc_u32_e32 v7, 0x3f0, v49
	v_add_co_u32 v11, vcc_lo, v0, v29
	v_mad_co_u64_u32 v[25:26], null, 0x498, v32, v[4:5]
	s_delay_alu instid0(VALU_DEP_3)
	v_lshlrev_b64_e32 v[13:14], 3, v[7:8]
	s_wait_alu 0xfffd
	v_add_co_ci_u32_e32 v12, vcc_lo, v1, v30, vcc_lo
	v_add_co_u32 v2, vcc_lo, v0, v2
	s_wait_alu 0xfffd
	v_add_co_ci_u32_e32 v3, vcc_lo, v1, v3, vcc_lo
	v_add_co_u32 v13, vcc_lo, v0, v13
	v_dual_mov_b32 v26, v8 :: v_dual_add_nc_u32 v7, 0xa8, v25
	s_wait_alu 0xfffd
	v_add_co_ci_u32_e32 v14, vcc_lo, v1, v14, vcc_lo
	s_clause 0x2
	global_store_b64 v[11:12], v[41:42], off
	global_store_b64 v[2:3], v[39:40], off
	;; [unrolled: 1-line block ×3, first 2 shown]
	v_lshlrev_b64_e32 v[2:3], 3, v[7:8]
	v_add_nc_u32_e32 v7, 0x150, v25
	v_lshlrev_b64_e32 v[26:27], 3, v[25:26]
	s_delay_alu instid0(VALU_DEP_2) | instskip(SKIP_1) | instid1(VALU_DEP_3)
	v_lshlrev_b64_e32 v[13:14], 3, v[7:8]
	v_add_nc_u32_e32 v7, 0x1f8, v25
	v_add_co_u32 v11, vcc_lo, v0, v26
	s_wait_alu 0xfffd
	s_delay_alu instid0(VALU_DEP_4) | instskip(NEXT) | instid1(VALU_DEP_3)
	v_add_co_ci_u32_e32 v12, vcc_lo, v1, v27, vcc_lo
	v_lshlrev_b64_e32 v[26:27], 3, v[7:8]
	v_add_nc_u32_e32 v7, 0x2a0, v25
	v_add_co_u32 v2, vcc_lo, v0, v2
	s_wait_alu 0xfffd
	v_add_co_ci_u32_e32 v3, vcc_lo, v1, v3, vcc_lo
	s_delay_alu instid0(VALU_DEP_3) | instskip(SKIP_4) | instid1(VALU_DEP_3)
	v_lshlrev_b64_e32 v[28:29], 3, v[7:8]
	v_add_nc_u32_e32 v7, 0x348, v25
	v_add_co_u32 v13, vcc_lo, v0, v13
	s_wait_alu 0xfffd
	v_add_co_ci_u32_e32 v14, vcc_lo, v1, v14, vcc_lo
	v_lshlrev_b64_e32 v[30:31], 3, v[7:8]
	v_add_nc_u32_e32 v7, 0x3f0, v25
	v_add_co_u32 v26, vcc_lo, v0, v26
	s_wait_alu 0xfffd
	v_add_co_ci_u32_e32 v27, vcc_lo, v1, v27, vcc_lo
	v_add_co_u32 v28, vcc_lo, v0, v28
	v_lshlrev_b64_e32 v[7:8], 3, v[7:8]
	s_wait_alu 0xfffd
	v_add_co_ci_u32_e32 v29, vcc_lo, v1, v29, vcc_lo
	v_add_co_u32 v30, vcc_lo, v0, v30
	s_wait_alu 0xfffd
	v_add_co_ci_u32_e32 v31, vcc_lo, v1, v31, vcc_lo
	v_add_co_u32 v0, vcc_lo, v0, v7
	s_wait_alu 0xfffd
	v_add_co_ci_u32_e32 v1, vcc_lo, v1, v8, vcc_lo
	s_clause 0x6
	global_store_b64 v[11:12], v[9:10], off
	global_store_b64 v[2:3], v[23:24], off
	;; [unrolled: 1-line block ×7, first 2 shown]
.LBB0_37:
	s_nop 0
	s_sendmsg sendmsg(MSG_DEALLOC_VGPRS)
	s_endpgm
	.section	.rodata,"a",@progbits
	.p2align	6, 0x0
	.amdhsa_kernel fft_rtc_back_len1176_factors_2_2_2_3_7_7_wgs_56_tpt_56_halfLds_sp_op_CI_CI_unitstride_sbrr_dirReg
		.amdhsa_group_segment_fixed_size 0
		.amdhsa_private_segment_fixed_size 0
		.amdhsa_kernarg_size 104
		.amdhsa_user_sgpr_count 2
		.amdhsa_user_sgpr_dispatch_ptr 0
		.amdhsa_user_sgpr_queue_ptr 0
		.amdhsa_user_sgpr_kernarg_segment_ptr 1
		.amdhsa_user_sgpr_dispatch_id 0
		.amdhsa_user_sgpr_private_segment_size 0
		.amdhsa_wavefront_size32 1
		.amdhsa_uses_dynamic_stack 0
		.amdhsa_enable_private_segment 0
		.amdhsa_system_sgpr_workgroup_id_x 1
		.amdhsa_system_sgpr_workgroup_id_y 0
		.amdhsa_system_sgpr_workgroup_id_z 0
		.amdhsa_system_sgpr_workgroup_info 0
		.amdhsa_system_vgpr_workitem_id 0
		.amdhsa_next_free_vgpr 99
		.amdhsa_next_free_sgpr 39
		.amdhsa_reserve_vcc 1
		.amdhsa_float_round_mode_32 0
		.amdhsa_float_round_mode_16_64 0
		.amdhsa_float_denorm_mode_32 3
		.amdhsa_float_denorm_mode_16_64 3
		.amdhsa_fp16_overflow 0
		.amdhsa_workgroup_processor_mode 1
		.amdhsa_memory_ordered 1
		.amdhsa_forward_progress 0
		.amdhsa_round_robin_scheduling 0
		.amdhsa_exception_fp_ieee_invalid_op 0
		.amdhsa_exception_fp_denorm_src 0
		.amdhsa_exception_fp_ieee_div_zero 0
		.amdhsa_exception_fp_ieee_overflow 0
		.amdhsa_exception_fp_ieee_underflow 0
		.amdhsa_exception_fp_ieee_inexact 0
		.amdhsa_exception_int_div_zero 0
	.end_amdhsa_kernel
	.text
.Lfunc_end0:
	.size	fft_rtc_back_len1176_factors_2_2_2_3_7_7_wgs_56_tpt_56_halfLds_sp_op_CI_CI_unitstride_sbrr_dirReg, .Lfunc_end0-fft_rtc_back_len1176_factors_2_2_2_3_7_7_wgs_56_tpt_56_halfLds_sp_op_CI_CI_unitstride_sbrr_dirReg
                                        ; -- End function
	.section	.AMDGPU.csdata,"",@progbits
; Kernel info:
; codeLenInByte = 13136
; NumSgprs: 41
; NumVgprs: 99
; ScratchSize: 0
; MemoryBound: 0
; FloatMode: 240
; IeeeMode: 1
; LDSByteSize: 0 bytes/workgroup (compile time only)
; SGPRBlocks: 5
; VGPRBlocks: 12
; NumSGPRsForWavesPerEU: 41
; NumVGPRsForWavesPerEU: 99
; Occupancy: 12
; WaveLimiterHint : 1
; COMPUTE_PGM_RSRC2:SCRATCH_EN: 0
; COMPUTE_PGM_RSRC2:USER_SGPR: 2
; COMPUTE_PGM_RSRC2:TRAP_HANDLER: 0
; COMPUTE_PGM_RSRC2:TGID_X_EN: 1
; COMPUTE_PGM_RSRC2:TGID_Y_EN: 0
; COMPUTE_PGM_RSRC2:TGID_Z_EN: 0
; COMPUTE_PGM_RSRC2:TIDIG_COMP_CNT: 0
	.text
	.p2alignl 7, 3214868480
	.fill 96, 4, 3214868480
	.type	__hip_cuid_77031b43d48a1e63,@object ; @__hip_cuid_77031b43d48a1e63
	.section	.bss,"aw",@nobits
	.globl	__hip_cuid_77031b43d48a1e63
__hip_cuid_77031b43d48a1e63:
	.byte	0                               ; 0x0
	.size	__hip_cuid_77031b43d48a1e63, 1

	.ident	"AMD clang version 19.0.0git (https://github.com/RadeonOpenCompute/llvm-project roc-6.4.0 25133 c7fe45cf4b819c5991fe208aaa96edf142730f1d)"
	.section	".note.GNU-stack","",@progbits
	.addrsig
	.addrsig_sym __hip_cuid_77031b43d48a1e63
	.amdgpu_metadata
---
amdhsa.kernels:
  - .args:
      - .actual_access:  read_only
        .address_space:  global
        .offset:         0
        .size:           8
        .value_kind:     global_buffer
      - .offset:         8
        .size:           8
        .value_kind:     by_value
      - .actual_access:  read_only
        .address_space:  global
        .offset:         16
        .size:           8
        .value_kind:     global_buffer
      - .actual_access:  read_only
        .address_space:  global
        .offset:         24
        .size:           8
        .value_kind:     global_buffer
      - .actual_access:  read_only
        .address_space:  global
        .offset:         32
        .size:           8
        .value_kind:     global_buffer
      - .offset:         40
        .size:           8
        .value_kind:     by_value
      - .actual_access:  read_only
        .address_space:  global
        .offset:         48
        .size:           8
        .value_kind:     global_buffer
      - .actual_access:  read_only
        .address_space:  global
        .offset:         56
        .size:           8
        .value_kind:     global_buffer
      - .offset:         64
        .size:           4
        .value_kind:     by_value
      - .actual_access:  read_only
        .address_space:  global
        .offset:         72
        .size:           8
        .value_kind:     global_buffer
      - .actual_access:  read_only
        .address_space:  global
        .offset:         80
        .size:           8
        .value_kind:     global_buffer
      - .actual_access:  read_only
        .address_space:  global
        .offset:         88
        .size:           8
        .value_kind:     global_buffer
      - .actual_access:  write_only
        .address_space:  global
        .offset:         96
        .size:           8
        .value_kind:     global_buffer
    .group_segment_fixed_size: 0
    .kernarg_segment_align: 8
    .kernarg_segment_size: 104
    .language:       OpenCL C
    .language_version:
      - 2
      - 0
    .max_flat_workgroup_size: 56
    .name:           fft_rtc_back_len1176_factors_2_2_2_3_7_7_wgs_56_tpt_56_halfLds_sp_op_CI_CI_unitstride_sbrr_dirReg
    .private_segment_fixed_size: 0
    .sgpr_count:     41
    .sgpr_spill_count: 0
    .symbol:         fft_rtc_back_len1176_factors_2_2_2_3_7_7_wgs_56_tpt_56_halfLds_sp_op_CI_CI_unitstride_sbrr_dirReg.kd
    .uniform_work_group_size: 1
    .uses_dynamic_stack: false
    .vgpr_count:     99
    .vgpr_spill_count: 0
    .wavefront_size: 32
    .workgroup_processor_mode: 1
amdhsa.target:   amdgcn-amd-amdhsa--gfx1201
amdhsa.version:
  - 1
  - 2
...

	.end_amdgpu_metadata
